;; amdgpu-corpus repo=ROCm/rocFFT kind=compiled arch=gfx1030 opt=O3
	.text
	.amdgcn_target "amdgcn-amd-amdhsa--gfx1030"
	.amdhsa_code_object_version 6
	.protected	bluestein_single_back_len1190_dim1_dp_op_CI_CI ; -- Begin function bluestein_single_back_len1190_dim1_dp_op_CI_CI
	.globl	bluestein_single_back_len1190_dim1_dp_op_CI_CI
	.p2align	8
	.type	bluestein_single_back_len1190_dim1_dp_op_CI_CI,@function
bluestein_single_back_len1190_dim1_dp_op_CI_CI: ; @bluestein_single_back_len1190_dim1_dp_op_CI_CI
; %bb.0:
	s_mov_b64 s[62:63], s[2:3]
	s_mov_b64 s[60:61], s[0:1]
	s_load_dwordx4 s[0:3], s[4:5], 0x28
	v_mul_u32_u24_e32 v1, 0x304, v0
	s_add_u32 s60, s60, s7
	s_addc_u32 s61, s61, 0
	v_lshrrev_b32_e32 v1, 16, v1
	v_mad_u64_u32 v[3:4], null, s6, 3, v[1:2]
	v_mov_b32_e32 v4, 0
                                        ; kill: def $vgpr2 killed $sgpr0 killed $exec
	s_waitcnt lgkmcnt(0)
	v_cmp_gt_u64_e32 vcc_lo, s[0:1], v[3:4]
	s_and_saveexec_b32 s0, vcc_lo
	s_cbranch_execz .LBB0_23
; %bb.1:
	v_mul_hi_u32 v2, 0xaaaaaaab, v3
	v_mul_lo_u16 v1, 0x55, v1
	s_clause 0x1
	s_load_dwordx2 s[12:13], s[4:5], 0x0
	s_load_dwordx2 s[14:15], s[4:5], 0x38
	v_sub_nc_u16 v0, v0, v1
	v_mov_b32_e32 v1, v3
	v_lshrrev_b32_e32 v2, 1, v2
	v_cmp_gt_u16_e32 vcc_lo, 0x46, v0
	v_lshl_add_u32 v2, v2, 1, v2
	buffer_store_dword v1, off, s[60:63], 0 offset:8 ; 4-byte Folded Spill
	buffer_store_dword v2, off, s[60:63], 0 offset:12 ; 4-byte Folded Spill
	v_sub_nc_u32_e32 v1, v3, v2
	v_and_b32_e32 v2, 0xffff, v0
	v_mul_u32_u24_e32 v241, 0x4a6, v1
	v_lshlrev_b32_e32 v242, 4, v2
	buffer_store_dword v2, off, s[60:63], 0 ; 4-byte Folded Spill
	v_lshlrev_b32_e32 v0, 4, v241
	buffer_store_dword v0, off, s[60:63], 0 offset:4 ; 4-byte Folded Spill
	s_and_saveexec_b32 s1, vcc_lo
	s_cbranch_execz .LBB0_3
; %bb.2:
	s_load_dwordx2 s[6:7], s[4:5], 0x18
	s_waitcnt lgkmcnt(0)
	v_add_co_u32 v10, s0, s12, v242
	v_add_co_ci_u32_e64 v11, null, s13, 0, s0
	v_add_co_u32 v12, s0, 0x800, v10
	v_add_co_ci_u32_e64 v13, s0, 0, v11, s0
	v_add_co_u32 v20, s0, 0x1000, v10
	v_add_co_ci_u32_e64 v21, s0, 0, v11, s0
	;; [unrolled: 2-line block ×3, first 2 shown]
	v_add_co_u32 v36, s0, 0x2000, v10
	s_load_dwordx4 s[8:11], s[6:7], 0x0
	s_clause 0x1
	global_load_dwordx4 v[0:3], v242, s[12:13]
	global_load_dwordx4 v[4:7], v242, s[12:13] offset:1120
	s_clause 0x2
	buffer_load_dword v8, off, s[60:63], 0 offset:8
	buffer_load_dword v9, off, s[60:63], 0 offset:12
	buffer_load_dword v148, off, s[60:63], 0
	v_add_co_ci_u32_e64 v37, s0, 0, v11, s0
	v_add_co_u32 v40, s0, 0x2800, v10
	v_add_co_ci_u32_e64 v41, s0, 0, v11, s0
	v_add_co_u32 v48, s0, 0x3000, v10
	;; [unrolled: 2-line block ×4, first 2 shown]
	v_add_co_ci_u32_e64 v129, s0, 0, v11, s0
	s_waitcnt lgkmcnt(0)
	s_mul_i32 s6, s9, 0x460
	s_mul_hi_u32 s7, s8, 0x460
	s_add_i32 s7, s7, s6
	s_waitcnt vmcnt(2)
	v_mov_b32_e32 v14, v8
	s_waitcnt vmcnt(0)
	v_mad_u64_u32 v[42:43], null, s8, v148, 0
	v_mad_u64_u32 v[32:33], null, s10, v14, 0
	v_mov_b32_e32 v9, v43
	v_mov_b32_e32 v8, v33
	v_mad_u64_u32 v[34:35], null, s9, v148, v[9:10]
	v_mad_u64_u32 v[16:17], null, s11, v14, v[8:9]
	s_clause 0x1
	global_load_dwordx4 v[8:11], v[12:13], off offset:192
	global_load_dwordx4 v[12:15], v[12:13], off offset:1312
	v_mov_b32_e32 v43, v34
	v_mov_b32_e32 v33, v16
	v_lshlrev_b64 v[42:43], 4, v[42:43]
	s_clause 0x3
	global_load_dwordx4 v[16:19], v[20:21], off offset:384
	global_load_dwordx4 v[20:23], v[20:21], off offset:1504
	;; [unrolled: 1-line block ×4, first 2 shown]
	v_lshlrev_b64 v[44:45], 4, v[32:33]
	s_clause 0x1
	global_load_dwordx4 v[32:35], v[36:37], off offset:768
	global_load_dwordx4 v[36:39], v[36:37], off offset:1888
	v_add_co_u32 v44, s0, s2, v44
	v_add_co_ci_u32_e64 v45, s0, s3, v45, s0
	s_mul_i32 s2, s8, 0x460
	v_add_co_u32 v60, s0, v44, v42
	v_add_co_ci_u32_e64 v61, s0, v45, v43, s0
	global_load_dwordx4 v[40:43], v[40:41], off offset:960
	v_add_co_u32 v64, s0, v60, s2
	v_add_co_ci_u32_e64 v65, s0, s7, v61, s0
	s_clause 0x1
	global_load_dwordx4 v[44:47], v[48:49], off offset:32
	global_load_dwordx4 v[48:51], v[48:49], off offset:1152
	v_add_co_u32 v68, s0, v64, s2
	v_add_co_ci_u32_e64 v69, s0, s7, v65, s0
	s_clause 0x1
	global_load_dwordx4 v[52:55], v[56:57], off offset:224
	global_load_dwordx4 v[56:59], v[56:57], off offset:1344
	v_add_co_u32 v72, s0, v68, s2
	v_add_co_ci_u32_e64 v73, s0, s7, v69, s0
	s_clause 0x1
	global_load_dwordx4 v[60:63], v[60:61], off
	global_load_dwordx4 v[64:67], v[64:65], off
	v_add_co_u32 v76, s0, v72, s2
	v_add_co_ci_u32_e64 v77, s0, s7, v73, s0
	global_load_dwordx4 v[68:71], v[68:69], off
	v_add_co_u32 v80, s0, v76, s2
	v_add_co_ci_u32_e64 v81, s0, s7, v77, s0
	s_clause 0x1
	global_load_dwordx4 v[72:75], v[72:73], off
	global_load_dwordx4 v[76:79], v[76:77], off
	v_add_co_u32 v84, s0, v80, s2
	v_add_co_ci_u32_e64 v85, s0, s7, v81, s0
	global_load_dwordx4 v[80:83], v[80:81], off
	v_add_co_u32 v88, s0, v84, s2
	v_add_co_ci_u32_e64 v89, s0, s7, v85, s0
	;; [unrolled: 3-line block ×10, first 2 shown]
	v_add_co_u32 v132, s0, v120, s2
	v_add_co_ci_u32_e64 v133, s0, s7, v121, s0
	global_load_dwordx4 v[116:119], v[116:117], off
	global_load_dwordx4 v[120:123], v[120:121], off
	s_clause 0x1
	global_load_dwordx4 v[124:127], v[128:129], off offset:416
	global_load_dwordx4 v[128:131], v[128:129], off offset:1536
	global_load_dwordx4 v[132:135], v[132:133], off
	s_waitcnt vmcnt(18)
	v_mul_f64 v[136:137], v[62:63], v[2:3]
	v_mul_f64 v[2:3], v[60:61], v[2:3]
	s_waitcnt vmcnt(17)
	v_mul_f64 v[138:139], v[66:67], v[6:7]
	v_mul_f64 v[6:7], v[64:65], v[6:7]
	;; [unrolled: 3-line block ×6, first 2 shown]
	v_fma_f64 v[60:61], v[60:61], v[0:1], v[136:137]
	v_fma_f64 v[62:63], v[62:63], v[0:1], -v[2:3]
	v_fma_f64 v[0:1], v[64:65], v[4:5], v[138:139]
	s_waitcnt vmcnt(12)
	v_mul_f64 v[64:65], v[86:87], v[26:27]
	v_mul_f64 v[26:27], v[84:85], v[26:27]
	v_fma_f64 v[2:3], v[66:67], v[4:5], -v[6:7]
	s_waitcnt vmcnt(11)
	v_mul_f64 v[66:67], v[90:91], v[30:31]
	v_mul_f64 v[30:31], v[88:89], v[30:31]
	v_fma_f64 v[4:5], v[68:69], v[8:9], v[140:141]
	s_waitcnt vmcnt(10)
	v_mul_f64 v[68:69], v[94:95], v[34:35]
	v_mul_f64 v[34:35], v[92:93], v[34:35]
	v_fma_f64 v[6:7], v[70:71], v[8:9], -v[10:11]
	v_fma_f64 v[8:9], v[72:73], v[12:13], v[142:143]
	v_fma_f64 v[10:11], v[74:75], v[12:13], -v[14:15]
	s_waitcnt vmcnt(9)
	v_mul_f64 v[70:71], v[98:99], v[38:39]
	v_mul_f64 v[38:39], v[96:97], v[38:39]
	v_fma_f64 v[12:13], v[76:77], v[16:17], v[144:145]
	v_fma_f64 v[14:15], v[78:79], v[16:17], -v[18:19]
	v_fma_f64 v[16:17], v[80:81], v[20:21], v[146:147]
	s_waitcnt vmcnt(8)
	v_mul_f64 v[72:73], v[102:103], v[42:43]
	v_mul_f64 v[42:43], v[100:101], v[42:43]
	v_fma_f64 v[18:19], v[82:83], v[20:21], -v[22:23]
	s_waitcnt vmcnt(7)
	v_mul_f64 v[74:75], v[106:107], v[46:47]
	v_mul_f64 v[46:47], v[104:105], v[46:47]
	v_fma_f64 v[20:21], v[84:85], v[24:25], v[64:65]
	v_fma_f64 v[22:23], v[86:87], v[24:25], -v[26:27]
	v_fma_f64 v[24:25], v[88:89], v[28:29], v[66:67]
	s_waitcnt vmcnt(6)
	v_mul_f64 v[76:77], v[110:111], v[50:51]
	v_mul_f64 v[50:51], v[108:109], v[50:51]
	v_fma_f64 v[26:27], v[90:91], v[28:29], -v[30:31]
	v_fma_f64 v[28:29], v[92:93], v[32:33], v[68:69]
	v_fma_f64 v[30:31], v[94:95], v[32:33], -v[34:35]
	s_waitcnt vmcnt(5)
	v_mul_f64 v[78:79], v[114:115], v[54:55]
	v_mul_f64 v[54:55], v[112:113], v[54:55]
	v_fma_f64 v[32:33], v[96:97], v[36:37], v[70:71]
	v_fma_f64 v[34:35], v[98:99], v[36:37], -v[38:39]
	v_lshlrev_b32_e32 v69, 4, v241
	s_waitcnt vmcnt(4)
	v_mul_f64 v[80:81], v[118:119], v[58:59]
	v_mul_f64 v[58:59], v[116:117], v[58:59]
	s_waitcnt vmcnt(2)
	v_mul_f64 v[82:83], v[122:123], v[126:127]
	v_mul_f64 v[126:127], v[120:121], v[126:127]
	;; [unrolled: 3-line block ×3, first 2 shown]
	v_fma_f64 v[36:37], v[100:101], v[40:41], v[72:73]
	v_fma_f64 v[38:39], v[102:103], v[40:41], -v[42:43]
	v_fma_f64 v[40:41], v[104:105], v[44:45], v[74:75]
	v_fma_f64 v[42:43], v[106:107], v[44:45], -v[46:47]
	v_lshl_add_u32 v68, v148, 4, v69
	v_fma_f64 v[44:45], v[108:109], v[48:49], v[76:77]
	v_fma_f64 v[46:47], v[110:111], v[48:49], -v[50:51]
	v_add_nc_u32_e32 v69, v69, v242
	v_fma_f64 v[48:49], v[112:113], v[52:53], v[78:79]
	v_fma_f64 v[50:51], v[114:115], v[52:53], -v[54:55]
	v_fma_f64 v[52:53], v[116:117], v[56:57], v[80:81]
	v_fma_f64 v[54:55], v[118:119], v[56:57], -v[58:59]
	;; [unrolled: 2-line block ×4, first 2 shown]
	ds_write_b128 v68, v[60:63]
	ds_write_b128 v69, v[0:3] offset:1120
	ds_write_b128 v69, v[4:7] offset:2240
	;; [unrolled: 1-line block ×16, first 2 shown]
.LBB0_3:
	s_or_b32 exec_lo, exec_lo, s1
	s_clause 0x1
	s_load_dwordx2 s[0:1], s[4:5], 0x20
	s_load_dwordx2 s[2:3], s[4:5], 0x8
	s_waitcnt lgkmcnt(0)
	s_waitcnt_vscnt null, 0x0
	s_barrier
	buffer_gl0_inv
                                        ; implicit-def: $vgpr8_vgpr9
                                        ; implicit-def: $vgpr60_vgpr61
                                        ; implicit-def: $vgpr64_vgpr65
                                        ; implicit-def: $vgpr68_vgpr69
                                        ; implicit-def: $vgpr72_vgpr73
                                        ; implicit-def: $vgpr56_vgpr57
                                        ; implicit-def: $vgpr52_vgpr53
                                        ; implicit-def: $vgpr40_vgpr41
                                        ; implicit-def: $vgpr48_vgpr49
                                        ; implicit-def: $vgpr44_vgpr45
                                        ; implicit-def: $vgpr36_vgpr37
                                        ; implicit-def: $vgpr32_vgpr33
                                        ; implicit-def: $vgpr28_vgpr29
                                        ; implicit-def: $vgpr24_vgpr25
                                        ; implicit-def: $vgpr20_vgpr21
                                        ; implicit-def: $vgpr16_vgpr17
                                        ; implicit-def: $vgpr12_vgpr13
	s_and_saveexec_b32 s4, vcc_lo
	s_cbranch_execz .LBB0_5
; %bb.4:
	v_lshl_add_u32 v0, v241, 4, v242
	ds_read_b128 v[8:11], v0
	ds_read_b128 v[60:63], v0 offset:1120
	ds_read_b128 v[64:67], v0 offset:2240
	;; [unrolled: 1-line block ×16, first 2 shown]
.LBB0_5:
	s_or_b32 exec_lo, exec_lo, s4
	s_waitcnt lgkmcnt(0)
	v_add_f64 v[142:143], v[62:63], -v[14:15]
	v_add_f64 v[156:157], v[60:61], -v[12:13]
	s_mov_b32 s4, 0x5d8e7cdc
	s_mov_b32 s5, 0xbfd71e95
	v_add_f64 v[138:139], v[60:61], v[12:13]
	v_add_f64 v[80:81], v[66:67], -v[18:19]
	v_add_f64 v[154:155], v[62:63], v[14:15]
	v_add_f64 v[78:79], v[64:65], -v[16:17]
	s_mov_b32 s8, 0x370991
	s_mov_b32 s6, 0x2a9d6da3
	;; [unrolled: 1-line block ×4, first 2 shown]
	v_add_f64 v[76:77], v[64:65], v[16:17]
	v_add_f64 v[92:93], v[70:71], -v[22:23]
	v_add_f64 v[96:97], v[66:67], v[18:19]
	v_add_f64 v[88:89], v[68:69], -v[20:21]
	s_mov_b32 s10, 0x75d4884
	s_mov_b32 s16, 0x7c9e640b
	;; [unrolled: 1-line block ×4, first 2 shown]
	v_add_f64 v[82:83], v[68:69], v[20:21]
	v_add_f64 v[98:99], v[74:75], -v[26:27]
	v_mul_f64 v[146:147], v[142:143], s[4:5]
	v_mul_f64 v[158:159], v[156:157], s[4:5]
	v_add_f64 v[100:101], v[70:71], v[22:23]
	v_add_f64 v[94:95], v[72:73], -v[24:25]
	s_mov_b32 s18, 0x2b2883cd
	v_mul_f64 v[128:129], v[80:81], s[6:7]
	s_mov_b32 s20, 0xeb564b22
	v_mul_f64 v[136:137], v[78:79], s[6:7]
	s_mov_b32 s19, 0x3fdc86fa
	s_mov_b32 s21, 0xbfefdd0d
	v_add_f64 v[90:91], v[72:73], v[24:25]
	v_add_f64 v[102:103], v[74:75], v[26:27]
	v_add_f64 v[112:113], v[58:59], -v[30:31]
	v_mul_f64 v[134:135], v[92:93], s[16:17]
	s_mov_b32 s22, 0x3259b75e
	v_mul_f64 v[150:151], v[88:89], s[16:17]
	s_mov_b32 s38, 0x923c349f
	s_mov_b32 s23, 0x3fb79ee6
	;; [unrolled: 1-line block ×5, first 2 shown]
	v_mul_f64 v[148:149], v[98:99], s[20:21]
	v_fma_f64 v[0:1], v[138:139], s[8:9], v[146:147]
	v_fma_f64 v[2:3], v[154:155], s[8:9], -v[158:159]
	v_add_f64 v[104:105], v[56:57], v[28:29]
	v_mul_f64 v[152:153], v[94:95], s[20:21]
	v_add_f64 v[106:107], v[56:57], -v[28:29]
	v_fma_f64 v[4:5], v[76:77], s[10:11], v[128:129]
	s_mov_b32 s26, 0xc61f0d01
	v_fma_f64 v[6:7], v[96:97], s[10:11], -v[136:137]
	s_mov_b32 s27, 0xbfd183b1
	v_add_f64 v[116:117], v[58:59], v[30:31]
	v_add_f64 v[126:127], v[54:55], -v[34:35]
	s_mov_b32 s30, 0x6c9a05f6
	v_mul_f64 v[160:161], v[112:113], s[28:29]
	v_fma_f64 v[84:85], v[82:83], s[18:19], v[134:135]
	s_mov_b32 s31, 0xbfe9895b
	v_add_f64 v[108:109], v[52:53], v[32:33]
	v_add_f64 v[110:111], v[52:53], -v[32:33]
	s_mov_b32 s24, 0x6ed5f1bb
	s_mov_b32 s25, 0xbfe348c8
	v_add_f64 v[144:145], v[54:55], v[34:35]
	v_add_f64 v[120:121], v[42:43], -v[38:39]
	s_mov_b32 s36, 0x4363dd80
	v_add_f64 v[0:1], v[8:9], v[0:1]
	v_add_f64 v[2:3], v[10:11], v[2:3]
	s_mov_b32 s37, 0x3fe0d888
	s_mov_b32 s47, 0xbfe0d888
	v_mul_f64 v[162:163], v[106:107], s[28:29]
	s_mov_b32 s46, s36
	v_add_f64 v[114:115], v[40:41], v[36:37]
	v_add_f64 v[118:119], v[40:41], -v[36:37]
	s_mov_b32 s34, 0x910ea3b9
	s_mov_b32 s35, 0xbfeb34fa
	v_mul_f64 v[164:165], v[126:127], s[30:31]
	v_add_f64 v[124:125], v[42:43], v[38:39]
	v_add_f64 v[132:133], v[50:51], -v[46:47]
	s_mov_b32 s42, 0xacd6c6b4
	s_mov_b32 s43, 0x3fc7851a
	;; [unrolled: 1-line block ×3, first 2 shown]
	v_mul_f64 v[166:167], v[110:111], s[30:31]
	s_mov_b32 s44, s42
	v_add_f64 v[122:123], v[48:49], v[44:45]
	v_add_f64 v[130:131], v[48:49], -v[44:45]
	v_mul_f64 v[168:169], v[120:121], s[46:47]
	s_mov_b32 s40, 0x7faef3
	v_add_f64 v[0:1], v[4:5], v[0:1]
	v_add_f64 v[2:3], v[6:7], v[2:3]
	v_fma_f64 v[4:5], v[100:101], s[18:19], -v[150:151]
	v_fma_f64 v[6:7], v[90:91], s[22:23], v[148:149]
	s_mov_b32 s41, 0xbfef7484
	v_add_f64 v[140:141], v[50:51], v[46:47]
	v_mul_f64 v[233:234], v[142:143], s[6:7]
	v_mul_f64 v[170:171], v[118:119], s[46:47]
	v_mul_f64 v[194:195], v[80:81], s[20:21]
	v_mul_f64 v[235:236], v[156:157], s[6:7]
	v_mul_f64 v[202:203], v[78:79], s[20:21]
	v_mul_f64 v[196:197], v[92:93], s[30:31]
	v_mul_f64 v[190:191], v[132:133], s[44:45]
	v_mul_f64 v[210:211], v[88:89], s[30:31]
	v_mul_f64 v[200:201], v[98:99], s[44:45]
	v_mul_f64 v[212:213], v[94:95], s[44:45]
	v_mul_f64 v[204:205], v[112:113], s[36:37]
	v_mul_f64 v[214:215], v[106:107], s[36:37]
	v_mul_f64 v[206:207], v[126:127], s[38:39]
	v_mul_f64 v[198:199], v[130:131], s[44:45]
	v_mul_f64 v[217:218], v[110:111], s[38:39]
	s_mov_b32 s49, 0x3feca52d
	v_add_f64 v[0:1], v[84:85], v[0:1]
	s_mov_b32 s48, s16
	v_add_f64 v[2:3], v[4:5], v[2:3]
	v_fma_f64 v[4:5], v[102:103], s[22:23], -v[152:153]
	v_mul_f64 v[208:209], v[120:121], s[48:49]
	v_mul_f64 v[219:220], v[118:119], s[48:49]
	s_mov_b32 s51, 0x3fd71e95
	s_mov_b32 s50, s4
	v_mul_f64 v[237:238], v[142:143], s[16:17]
	v_mul_f64 v[221:222], v[132:133], s[50:51]
	;; [unrolled: 1-line block ×10, first 2 shown]
	s_mov_b32 s53, 0x3fe58eea
	s_mov_b32 s52, s6
	v_mul_f64 v[180:181], v[126:127], s[4:5]
	v_mul_f64 v[178:179], v[112:113], s[52:53]
	v_add_f64 v[0:1], v[6:7], v[0:1]
	v_mul_f64 v[231:232], v[106:107], s[52:53]
	v_mul_f64 v[186:187], v[110:111], s[4:5]
	v_add_f64 v[2:3], v[4:5], v[2:3]
	v_fma_f64 v[4:5], v[104:105], s[26:27], v[160:161]
	v_mul_f64 v[182:183], v[120:121], s[20:21]
	v_mul_f64 v[188:189], v[118:119], s[20:21]
	;; [unrolled: 1-line block ×4, first 2 shown]
	s_barrier
	buffer_gl0_inv
	v_fma_f64 v[84:85], v[96:97], s[24:25], -v[225:226]
	v_add_f64 v[0:1], v[4:5], v[0:1]
	v_fma_f64 v[4:5], v[116:117], s[26:27], -v[162:163]
	v_add_f64 v[2:3], v[4:5], v[2:3]
	v_fma_f64 v[4:5], v[108:109], s[24:25], v[164:165]
	v_add_f64 v[0:1], v[4:5], v[0:1]
	v_fma_f64 v[4:5], v[144:145], s[24:25], -v[166:167]
	v_add_f64 v[2:3], v[4:5], v[2:3]
	v_fma_f64 v[4:5], v[114:115], s[34:35], v[168:169]
	;; [unrolled: 4-line block ×3, first 2 shown]
	v_add_f64 v[243:244], v[4:5], v[0:1]
	v_fma_f64 v[0:1], v[140:141], s[40:41], -v[198:199]
	v_fma_f64 v[4:5], v[96:97], s[22:23], -v[202:203]
	v_add_f64 v[245:246], v[0:1], v[2:3]
	v_fma_f64 v[0:1], v[138:139], s[10:11], v[233:234]
	v_fma_f64 v[2:3], v[76:77], s[22:23], v[194:195]
	v_add_f64 v[0:1], v[8:9], v[0:1]
	v_add_f64 v[0:1], v[2:3], v[0:1]
	v_fma_f64 v[2:3], v[154:155], s[10:11], -v[235:236]
	v_add_f64 v[2:3], v[10:11], v[2:3]
	v_add_f64 v[2:3], v[4:5], v[2:3]
	v_fma_f64 v[4:5], v[82:83], s[24:25], v[196:197]
	v_add_f64 v[0:1], v[4:5], v[0:1]
	v_fma_f64 v[4:5], v[100:101], s[24:25], -v[210:211]
	v_add_f64 v[2:3], v[4:5], v[2:3]
	v_fma_f64 v[4:5], v[90:91], s[40:41], v[200:201]
	v_add_f64 v[0:1], v[4:5], v[0:1]
	v_fma_f64 v[4:5], v[102:103], s[40:41], -v[212:213]
	;; [unrolled: 4-line block ×6, first 2 shown]
	v_add_f64 v[6:7], v[0:1], v[2:3]
	v_fma_f64 v[0:1], v[138:139], s[18:19], v[237:238]
	v_fma_f64 v[2:3], v[76:77], s[24:25], v[172:173]
	v_add_f64 v[0:1], v[8:9], v[0:1]
	v_add_f64 v[0:1], v[2:3], v[0:1]
	v_fma_f64 v[2:3], v[154:155], s[18:19], -v[239:240]
	v_add_f64 v[2:3], v[10:11], v[2:3]
	v_add_f64 v[2:3], v[84:85], v[2:3]
	v_fma_f64 v[84:85], v[82:83], s[40:41], v[174:175]
	v_add_f64 v[0:1], v[84:85], v[0:1]
	v_fma_f64 v[84:85], v[100:101], s[40:41], -v[227:228]
	v_add_f64 v[2:3], v[84:85], v[2:3]
	v_fma_f64 v[84:85], v[90:91], s[26:27], v[176:177]
	v_add_f64 v[0:1], v[84:85], v[0:1]
	v_fma_f64 v[84:85], v[102:103], s[26:27], -v[229:230]
	;; [unrolled: 4-line block ×6, first 2 shown]
	v_add_f64 v[86:87], v[0:1], v[2:3]
	s_and_saveexec_b32 s33, vcc_lo
	s_cbranch_execz .LBB0_7
; %bb.6:
	v_add_f64 v[2:3], v[8:9], v[60:61]
	v_add_f64 v[0:1], v[10:11], v[62:63]
	s_mov_b32 s57, 0x3fefdd0d
	s_mov_b32 s56, s20
	v_mul_f64 v[62:63], v[138:139], s[8:9]
	s_mov_b32 s55, 0x3fe9895b
	s_mov_b32 s54, s30
	v_add_f64 v[2:3], v[2:3], v[64:65]
	v_add_f64 v[0:1], v[0:1], v[66:67]
	v_add_f64 v[62:63], v[62:63], -v[146:147]
	v_mul_f64 v[146:147], v[126:127], s[48:49]
	v_add_f64 v[2:3], v[2:3], v[68:69]
	v_add_f64 v[0:1], v[0:1], v[70:71]
	v_add_f64 v[2:3], v[2:3], v[72:73]
	v_add_f64 v[0:1], v[0:1], v[74:75]
	v_add_f64 v[2:3], v[2:3], v[56:57]
	v_add_f64 v[0:1], v[0:1], v[58:59]
	v_add_f64 v[2:3], v[2:3], v[52:53]
	v_add_f64 v[0:1], v[0:1], v[54:55]
	v_add_f64 v[2:3], v[2:3], v[40:41]
	v_add_f64 v[0:1], v[0:1], v[42:43]
	v_add_f64 v[2:3], v[2:3], v[48:49]
	v_add_f64 v[0:1], v[0:1], v[50:51]
	v_mul_f64 v[48:49], v[142:143], s[28:29]
	v_mul_f64 v[50:51], v[142:143], s[20:21]
	v_add_f64 v[2:3], v[2:3], v[44:45]
	v_add_f64 v[0:1], v[0:1], v[46:47]
	v_mul_f64 v[44:45], v[142:143], s[46:47]
	v_mul_f64 v[46:47], v[142:143], s[30:31]
	v_fma_f64 v[58:59], v[138:139], s[26:27], v[48:49]
	v_fma_f64 v[48:49], v[138:139], s[26:27], -v[48:49]
	v_fma_f64 v[60:61], v[138:139], s[22:23], v[50:51]
	v_fma_f64 v[50:51], v[138:139], s[22:23], -v[50:51]
	v_add_f64 v[2:3], v[2:3], v[36:37]
	v_add_f64 v[0:1], v[0:1], v[38:39]
	v_fma_f64 v[54:55], v[138:139], s[34:35], v[44:45]
	v_fma_f64 v[44:45], v[138:139], s[34:35], -v[44:45]
	v_fma_f64 v[56:57], v[138:139], s[24:25], v[46:47]
	v_fma_f64 v[46:47], v[138:139], s[24:25], -v[46:47]
	v_add_f64 v[48:49], v[8:9], v[48:49]
	v_add_f64 v[2:3], v[2:3], v[32:33]
	;; [unrolled: 1-line block ×8, first 2 shown]
	v_mul_f64 v[28:29], v[154:155], s[22:23]
	v_add_f64 v[0:1], v[0:1], v[30:31]
	v_add_f64 v[2:3], v[2:3], v[24:25]
	v_fma_f64 v[30:31], v[156:157], s[56:57], v[28:29]
	v_fma_f64 v[32:33], v[156:157], s[20:21], v[28:29]
	v_mul_f64 v[28:29], v[154:155], s[18:19]
	v_add_f64 v[0:1], v[0:1], v[26:27]
	v_mul_f64 v[24:25], v[154:155], s[26:27]
	v_add_f64 v[2:3], v[2:3], v[20:21]
	;; [unrolled: 2-line block ×4, first 2 shown]
	v_fma_f64 v[26:27], v[156:157], s[38:39], v[24:25]
	v_fma_f64 v[24:25], v[156:157], s[28:29], v[24:25]
	v_add_f64 v[2:3], v[2:3], v[16:17]
	v_mul_f64 v[16:17], v[154:155], s[34:35]
	v_fma_f64 v[22:23], v[156:157], s[54:55], v[20:21]
	v_fma_f64 v[20:21], v[156:157], s[30:31], v[20:21]
	v_add_f64 v[36:37], v[28:29], -v[237:238]
	v_mul_f64 v[28:29], v[154:155], s[10:11]
	v_add_f64 v[0:1], v[0:1], v[18:19]
	v_add_f64 v[74:75], v[10:11], v[26:27]
	;; [unrolled: 1-line block ×6, first 2 shown]
	v_mul_f64 v[60:61], v[98:99], s[52:53]
	v_add_f64 v[12:13], v[2:3], v[12:13]
	v_fma_f64 v[18:19], v[156:157], s[36:37], v[16:17]
	v_fma_f64 v[16:17], v[156:157], s[46:47], v[16:17]
	v_add_f64 v[72:73], v[10:11], v[20:21]
	v_add_f64 v[36:37], v[8:9], v[36:37]
	;; [unrolled: 1-line block ×3, first 2 shown]
	v_mul_f64 v[28:29], v[138:139], s[10:11]
	v_add_f64 v[14:15], v[0:1], v[14:15]
	v_mul_f64 v[0:1], v[154:155], s[40:41]
	v_mul_f64 v[20:21], v[100:101], s[34:35]
	v_add_f64 v[70:71], v[10:11], v[22:23]
	v_mul_f64 v[22:23], v[92:93], s[46:47]
	v_add_f64 v[66:67], v[10:11], v[18:19]
	v_add_f64 v[68:69], v[10:11], v[16:17]
	v_mul_f64 v[16:17], v[96:97], s[8:9]
	v_mul_f64 v[18:19], v[80:81], s[50:51]
	v_add_f64 v[38:39], v[10:11], v[38:39]
	v_add_f64 v[40:41], v[28:29], -v[233:234]
	v_mul_f64 v[28:29], v[154:155], s[8:9]
	v_fma_f64 v[2:3], v[156:157], s[42:43], v[0:1]
	v_fma_f64 v[0:1], v[156:157], s[44:45], v[0:1]
	v_mul_f64 v[154:155], v[124:125], s[26:27]
	v_mul_f64 v[156:157], v[120:121], s[28:29]
	v_add_f64 v[40:41], v[8:9], v[40:41]
	v_add_f64 v[42:43], v[158:159], v[28:29]
	v_mul_f64 v[28:29], v[142:143], s[44:45]
	v_add_f64 v[2:3], v[10:11], v[2:3]
	v_add_f64 v[0:1], v[10:11], v[0:1]
	v_mul_f64 v[142:143], v[144:145], s[18:19]
	v_mul_f64 v[158:159], v[140:141], s[22:23]
	v_add_f64 v[42:43], v[10:11], v[42:43]
	v_fma_f64 v[52:53], v[138:139], s[40:41], v[28:29]
	v_fma_f64 v[28:29], v[138:139], s[40:41], -v[28:29]
	v_mul_f64 v[138:139], v[112:113], s[30:31]
	v_add_f64 v[52:53], v[8:9], v[52:53]
	v_add_f64 v[64:65], v[8:9], v[28:29]
	;; [unrolled: 1-line block ×6, first 2 shown]
	v_fma_f64 v[8:9], v[78:79], s[4:5], v[16:17]
	v_fma_f64 v[10:11], v[88:89], s[36:37], v[20:21]
	;; [unrolled: 1-line block ×3, first 2 shown]
	v_mul_f64 v[62:63], v[116:117], s[24:25]
	v_add_f64 v[2:3], v[8:9], v[2:3]
	v_fma_f64 v[8:9], v[76:77], s[8:9], v[18:19]
	v_add_f64 v[0:1], v[16:17], v[0:1]
	v_fma_f64 v[16:17], v[76:77], s[8:9], -v[18:19]
	v_fma_f64 v[18:19], v[88:89], s[46:47], v[20:21]
	v_add_f64 v[2:3], v[10:11], v[2:3]
	v_add_f64 v[8:9], v[8:9], v[52:53]
	v_fma_f64 v[10:11], v[82:83], s[34:35], v[22:23]
	v_mul_f64 v[52:53], v[102:103], s[10:11]
	v_add_f64 v[16:17], v[16:17], v[64:65]
	v_add_f64 v[0:1], v[18:19], v[0:1]
	v_fma_f64 v[18:19], v[82:83], s[34:35], -v[22:23]
	v_mul_f64 v[64:65], v[98:99], s[54:55]
	v_add_f64 v[8:9], v[10:11], v[8:9]
	v_fma_f64 v[10:11], v[94:95], s[6:7], v[52:53]
	v_add_f64 v[16:17], v[18:19], v[16:17]
	v_fma_f64 v[18:19], v[94:95], s[52:53], v[52:53]
	v_mul_f64 v[52:53], v[80:81], s[48:49]
	v_add_f64 v[2:3], v[10:11], v[2:3]
	v_fma_f64 v[10:11], v[90:91], s[10:11], v[60:61]
	v_add_f64 v[0:1], v[18:19], v[0:1]
	v_fma_f64 v[18:19], v[90:91], s[10:11], -v[60:61]
	v_fma_f64 v[20:21], v[76:77], s[18:19], v[52:53]
	v_mul_f64 v[60:61], v[92:93], s[20:21]
	v_fma_f64 v[52:53], v[76:77], s[18:19], -v[52:53]
	v_add_f64 v[8:9], v[10:11], v[8:9]
	v_fma_f64 v[10:11], v[106:107], s[54:55], v[62:63]
	v_add_f64 v[16:17], v[18:19], v[16:17]
	v_fma_f64 v[18:19], v[106:107], s[30:31], v[62:63]
	v_add_f64 v[20:21], v[20:21], v[54:55]
	v_mul_f64 v[54:55], v[100:101], s[22:23]
	v_mul_f64 v[62:63], v[102:103], s[24:25]
	v_add_f64 v[44:45], v[52:53], v[44:45]
	v_add_f64 v[2:3], v[10:11], v[2:3]
	v_fma_f64 v[10:11], v[104:105], s[24:25], v[138:139]
	v_add_f64 v[0:1], v[18:19], v[0:1]
	v_fma_f64 v[18:19], v[104:105], s[24:25], -v[138:139]
	v_fma_f64 v[22:23], v[88:89], s[56:57], v[54:55]
	v_mul_f64 v[138:139], v[112:113], s[4:5]
	v_fma_f64 v[52:53], v[88:89], s[20:21], v[54:55]
	v_mul_f64 v[54:55], v[82:83], s[40:41]
	v_add_f64 v[8:9], v[10:11], v[8:9]
	v_fma_f64 v[10:11], v[110:111], s[16:17], v[142:143]
	v_add_f64 v[16:17], v[18:19], v[16:17]
	v_fma_f64 v[18:19], v[110:111], s[48:49], v[142:143]
	v_mul_f64 v[142:143], v[144:145], s[40:41]
	v_add_f64 v[54:55], v[54:55], -v[174:175]
	v_add_f64 v[2:3], v[10:11], v[2:3]
	v_fma_f64 v[10:11], v[108:109], s[18:19], v[146:147]
	v_add_f64 v[0:1], v[18:19], v[0:1]
	v_fma_f64 v[18:19], v[108:109], s[18:19], -v[146:147]
	v_mul_f64 v[146:147], v[126:127], s[44:45]
	v_add_f64 v[8:9], v[10:11], v[8:9]
	v_fma_f64 v[10:11], v[118:119], s[38:39], v[154:155]
	v_add_f64 v[16:17], v[18:19], v[16:17]
	v_fma_f64 v[18:19], v[118:119], s[28:29], v[154:155]
	v_mul_f64 v[154:155], v[124:125], s[10:11]
	v_add_f64 v[2:3], v[10:11], v[2:3]
	v_fma_f64 v[10:11], v[114:115], s[26:27], v[156:157]
	v_add_f64 v[0:1], v[18:19], v[0:1]
	v_fma_f64 v[18:19], v[114:115], s[26:27], -v[156:157]
	v_mul_f64 v[156:157], v[120:121], s[52:53]
	v_add_f64 v[8:9], v[10:11], v[8:9]
	v_fma_f64 v[10:11], v[130:131], s[20:21], v[158:159]
	v_add_f64 v[16:17], v[18:19], v[16:17]
	v_fma_f64 v[18:19], v[130:131], s[56:57], v[158:159]
	v_mul_f64 v[158:159], v[140:141], s[26:27]
	v_add_f64 v[10:11], v[10:11], v[2:3]
	v_mul_f64 v[2:3], v[132:133], s[56:57]
	v_add_f64 v[18:19], v[18:19], v[0:1]
	v_mul_f64 v[0:1], v[96:97], s[18:19]
	v_fma_f64 v[233:234], v[122:123], s[22:23], v[2:3]
	v_fma_f64 v[2:3], v[122:123], s[22:23], -v[2:3]
	v_add_f64 v[8:9], v[233:234], v[8:9]
	v_add_f64 v[16:17], v[2:3], v[16:17]
	v_fma_f64 v[2:3], v[78:79], s[16:17], v[0:1]
	v_fma_f64 v[0:1], v[78:79], s[48:49], v[0:1]
	v_add_f64 v[2:3], v[2:3], v[66:67]
	v_mul_f64 v[66:67], v[116:117], s[8:9]
	v_add_f64 v[0:1], v[0:1], v[68:69]
	v_add_f64 v[2:3], v[22:23], v[2:3]
	v_fma_f64 v[22:23], v[82:83], s[22:23], v[60:61]
	v_add_f64 v[0:1], v[52:53], v[0:1]
	v_fma_f64 v[52:53], v[82:83], s[22:23], -v[60:61]
	v_mul_f64 v[60:61], v[108:109], s[8:9]
	v_add_f64 v[20:21], v[22:23], v[20:21]
	v_fma_f64 v[22:23], v[94:95], s[30:31], v[62:63]
	v_add_f64 v[44:45], v[52:53], v[44:45]
	v_fma_f64 v[52:53], v[94:95], s[54:55], v[62:63]
	v_add_f64 v[60:61], v[60:61], -v[180:181]
	v_add_f64 v[2:3], v[22:23], v[2:3]
	v_fma_f64 v[22:23], v[90:91], s[24:25], v[64:65]
	v_add_f64 v[0:1], v[52:53], v[0:1]
	v_fma_f64 v[52:53], v[90:91], s[24:25], -v[64:65]
	v_add_f64 v[20:21], v[22:23], v[20:21]
	v_fma_f64 v[22:23], v[106:107], s[50:51], v[66:67]
	v_add_f64 v[44:45], v[52:53], v[44:45]
	v_fma_f64 v[52:53], v[106:107], s[4:5], v[66:67]
	v_add_f64 v[2:3], v[22:23], v[2:3]
	v_fma_f64 v[22:23], v[104:105], s[8:9], v[138:139]
	v_add_f64 v[0:1], v[52:53], v[0:1]
	v_fma_f64 v[52:53], v[104:105], s[8:9], -v[138:139]
	v_add_f64 v[20:21], v[22:23], v[20:21]
	v_fma_f64 v[22:23], v[110:111], s[42:43], v[142:143]
	v_add_f64 v[44:45], v[52:53], v[44:45]
	v_fma_f64 v[52:53], v[110:111], s[44:45], v[142:143]
	;; [unrolled: 8-line block ×3, first 2 shown]
	v_add_f64 v[2:3], v[22:23], v[2:3]
	v_fma_f64 v[22:23], v[114:115], s[10:11], v[156:157]
	v_add_f64 v[0:1], v[52:53], v[0:1]
	v_fma_f64 v[52:53], v[114:115], s[10:11], -v[156:157]
	v_add_f64 v[20:21], v[22:23], v[20:21]
	v_fma_f64 v[22:23], v[130:131], s[38:39], v[158:159]
	v_add_f64 v[44:45], v[52:53], v[44:45]
	v_mul_f64 v[52:53], v[76:77], s[24:25]
	v_add_f64 v[22:23], v[22:23], v[2:3]
	v_mul_f64 v[2:3], v[132:133], s[28:29]
	v_add_f64 v[52:53], v[52:53], -v[172:173]
	v_fma_f64 v[233:234], v[122:123], s[26:27], v[2:3]
	v_add_f64 v[36:37], v[52:53], v[36:37]
	v_mul_f64 v[52:53], v[90:91], s[26:27]
	v_fma_f64 v[2:3], v[122:123], s[26:27], -v[2:3]
	v_add_f64 v[20:21], v[233:234], v[20:21]
	v_mul_f64 v[233:234], v[96:97], s[10:11]
	v_add_f64 v[52:53], v[52:53], -v[176:177]
	v_add_f64 v[36:37], v[54:55], v[36:37]
	v_mul_f64 v[54:55], v[104:105], s[10:11]
	v_add_f64 v[136:137], v[136:137], v[233:234]
	v_mul_f64 v[233:234], v[76:77], s[10:11]
	v_add_f64 v[36:37], v[52:53], v[36:37]
	v_add_f64 v[54:55], v[54:55], -v[178:179]
	v_mul_f64 v[52:53], v[144:145], s[8:9]
	v_add_f64 v[42:43], v[136:137], v[42:43]
	v_add_f64 v[128:129], v[233:234], -v[128:129]
	v_mul_f64 v[233:234], v[100:101], s[18:19]
	v_add_f64 v[36:37], v[54:55], v[36:37]
	v_add_f64 v[52:53], v[186:187], v[52:53]
	v_mul_f64 v[54:55], v[124:125], s[22:23]
	v_add_f64 v[50:51], v[128:129], v[50:51]
	v_add_f64 v[150:151], v[150:151], v[233:234]
	v_mul_f64 v[233:234], v[82:83], s[18:19]
	v_add_f64 v[36:37], v[60:61], v[36:37]
	v_add_f64 v[54:55], v[188:189], v[54:55]
	v_mul_f64 v[60:61], v[140:141], s[34:35]
	v_add_f64 v[42:43], v[150:151], v[42:43]
	v_add_f64 v[134:135], v[233:234], -v[134:135]
	v_mul_f64 v[233:234], v[102:103], s[22:23]
	v_add_f64 v[60:61], v[192:193], v[60:61]
	v_add_f64 v[50:51], v[134:135], v[50:51]
	;; [unrolled: 1-line block ×3, first 2 shown]
	v_mul_f64 v[233:234], v[90:91], s[22:23]
	v_add_f64 v[42:43], v[152:153], v[42:43]
	v_add_f64 v[148:149], v[233:234], -v[148:149]
	v_mul_f64 v[233:234], v[116:117], s[26:27]
	v_add_f64 v[50:51], v[148:149], v[50:51]
	v_add_f64 v[162:163], v[162:163], v[233:234]
	v_mul_f64 v[233:234], v[104:105], s[26:27]
	v_add_f64 v[42:43], v[162:163], v[42:43]
	v_add_f64 v[160:161], v[233:234], -v[160:161]
	v_mul_f64 v[233:234], v[144:145], s[24:25]
	v_add_f64 v[50:51], v[160:161], v[50:51]
	v_add_f64 v[166:167], v[166:167], v[233:234]
	;; [unrolled: 6-line block ×4, first 2 shown]
	v_mul_f64 v[233:234], v[122:123], s[40:41]
	v_add_f64 v[190:191], v[233:234], -v[190:191]
	v_mul_f64 v[233:234], v[96:97], s[22:23]
	v_add_f64 v[202:203], v[202:203], v[233:234]
	v_mul_f64 v[233:234], v[76:77], s[22:23]
	v_add_f64 v[38:39], v[202:203], v[38:39]
	v_add_f64 v[194:195], v[233:234], -v[194:195]
	v_mul_f64 v[233:234], v[100:101], s[24:25]
	v_add_f64 v[40:41], v[194:195], v[40:41]
	v_add_f64 v[210:211], v[210:211], v[233:234]
	v_mul_f64 v[233:234], v[82:83], s[24:25]
	v_add_f64 v[38:39], v[210:211], v[38:39]
	v_add_f64 v[196:197], v[233:234], -v[196:197]
	v_mul_f64 v[233:234], v[102:103], s[40:41]
	v_add_f64 v[40:41], v[196:197], v[40:41]
	;; [unrolled: 6-line block ×6, first 2 shown]
	v_add_f64 v[223:224], v[223:224], v[233:234]
	v_mul_f64 v[233:234], v[122:123], s[8:9]
	v_add_f64 v[221:222], v[233:234], -v[221:222]
	v_mul_f64 v[233:234], v[96:97], s[24:25]
	v_add_f64 v[225:226], v[225:226], v[233:234]
	v_mul_f64 v[233:234], v[100:101], s[40:41]
	v_add_f64 v[34:35], v[225:226], v[34:35]
	v_add_f64 v[227:228], v[227:228], v[233:234]
	v_mul_f64 v[233:234], v[116:117], s[10:11]
	v_add_f64 v[34:35], v[227:228], v[34:35]
	;; [unrolled: 3-line block ×3, first 2 shown]
	v_add_f64 v[34:35], v[229:230], v[34:35]
	v_add_f64 v[34:35], v[231:232], v[34:35]
	;; [unrolled: 1-line block ×3, first 2 shown]
	v_mul_f64 v[52:53], v[114:115], s[22:23]
	v_add_f64 v[54:55], v[54:55], v[34:35]
	v_mul_f64 v[34:35], v[122:123], s[34:35]
	v_add_f64 v[52:53], v[52:53], -v[182:183]
	v_add_f64 v[62:63], v[34:35], -v[184:185]
	v_mul_f64 v[34:35], v[96:97], s[40:41]
	v_add_f64 v[36:37], v[52:53], v[36:37]
	v_fma_f64 v[52:53], v[78:79], s[44:45], v[34:35]
	v_fma_f64 v[34:35], v[78:79], s[42:43], v[34:35]
	v_add_f64 v[36:37], v[62:63], v[36:37]
	v_add_f64 v[30:31], v[52:53], v[30:31]
	v_mul_f64 v[52:53], v[100:101], s[26:27]
	v_add_f64 v[28:29], v[34:35], v[28:29]
	v_fma_f64 v[64:65], v[88:89], s[38:39], v[52:53]
	v_fma_f64 v[52:53], v[88:89], s[28:29], v[52:53]
	v_add_f64 v[30:31], v[64:65], v[30:31]
	v_mul_f64 v[64:65], v[80:81], s[44:45]
	v_add_f64 v[28:29], v[52:53], v[28:29]
	v_fma_f64 v[66:67], v[76:77], s[40:41], -v[64:65]
	v_fma_f64 v[64:65], v[76:77], s[40:41], v[64:65]
	v_add_f64 v[32:33], v[66:67], v[32:33]
	v_mul_f64 v[66:67], v[102:103], s[8:9]
	v_add_f64 v[24:25], v[64:65], v[24:25]
	v_fma_f64 v[68:69], v[94:95], s[50:51], v[66:67]
	v_fma_f64 v[64:65], v[94:95], s[4:5], v[66:67]
	v_add_f64 v[30:31], v[68:69], v[30:31]
	v_mul_f64 v[68:69], v[92:93], s[38:39]
	v_add_f64 v[28:29], v[64:65], v[28:29]
	v_fma_f64 v[128:129], v[82:83], s[26:27], -v[68:69]
	v_add_f64 v[32:33], v[128:129], v[32:33]
	v_mul_f64 v[128:129], v[98:99], s[50:51]
	v_fma_f64 v[134:135], v[90:91], s[8:9], -v[128:129]
	v_add_f64 v[32:33], v[134:135], v[32:33]
	v_mul_f64 v[134:135], v[116:117], s[18:19]
	v_fma_f64 v[136:137], v[106:107], s[16:17], v[134:135]
	v_add_f64 v[30:31], v[136:137], v[30:31]
	v_mul_f64 v[136:137], v[112:113], s[16:17]
	v_fma_f64 v[138:139], v[104:105], s[18:19], -v[136:137]
	v_add_f64 v[32:33], v[138:139], v[32:33]
	v_mul_f64 v[138:139], v[144:145], s[34:35]
	v_fma_f64 v[142:143], v[110:111], s[46:47], v[138:139]
	;; [unrolled: 6-line block ×3, first 2 shown]
	v_add_f64 v[148:149], v[148:149], v[30:31]
	v_mul_f64 v[30:31], v[120:121], s[54:55]
	v_fma_f64 v[150:151], v[114:115], s[24:25], -v[30:31]
	v_fma_f64 v[30:31], v[114:115], s[24:25], v[30:31]
	v_add_f64 v[150:151], v[150:151], v[32:33]
	v_mul_f64 v[32:33], v[96:97], s[34:35]
	v_mul_f64 v[96:97], v[96:97], s[26:27]
	v_fma_f64 v[152:153], v[78:79], s[36:37], v[32:33]
	v_fma_f64 v[32:33], v[78:79], s[46:47], v[32:33]
	v_add_f64 v[58:59], v[152:153], v[58:59]
	v_mul_f64 v[152:153], v[100:101], s[10:11]
	v_add_f64 v[32:33], v[32:33], v[74:75]
	v_mul_f64 v[100:101], v[100:101], s[8:9]
	v_fma_f64 v[154:155], v[88:89], s[52:53], v[152:153]
	v_fma_f64 v[74:75], v[88:89], s[6:7], v[152:153]
	v_add_f64 v[58:59], v[154:155], v[58:59]
	v_mul_f64 v[154:155], v[102:103], s[18:19]
	v_add_f64 v[32:33], v[74:75], v[32:33]
	;; [unrolled: 6-line block ×3, first 2 shown]
	v_mul_f64 v[80:81], v[80:81], s[38:39]
	v_fma_f64 v[160:161], v[76:77], s[34:35], -v[156:157]
	v_add_f64 v[48:49], v[160:161], v[48:49]
	v_mul_f64 v[160:161], v[92:93], s[52:53]
	v_mul_f64 v[92:93], v[92:93], s[4:5]
	v_fma_f64 v[162:163], v[82:83], s[10:11], -v[160:161]
	v_fma_f64 v[34:35], v[82:83], s[10:11], v[160:161]
	v_add_f64 v[48:49], v[162:163], v[48:49]
	v_mul_f64 v[162:163], v[116:117], s[40:41]
	v_mul_f64 v[116:117], v[116:117], s[22:23]
	v_fma_f64 v[164:165], v[106:107], s[44:45], v[162:163]
	v_fma_f64 v[74:75], v[106:107], s[42:43], v[162:163]
	v_add_f64 v[58:59], v[164:165], v[58:59]
	v_mul_f64 v[164:165], v[98:99], s[16:17]
	v_add_f64 v[32:33], v[74:75], v[32:33]
	v_fma_f64 v[74:75], v[76:77], s[34:35], v[156:157]
	v_mul_f64 v[98:99], v[98:99], s[46:47]
	v_fma_f64 v[166:167], v[90:91], s[18:19], -v[164:165]
	v_fma_f64 v[52:53], v[90:91], s[18:19], v[164:165]
	v_add_f64 v[26:27], v[74:75], v[26:27]
	v_fma_f64 v[74:75], v[110:111], s[36:37], v[138:139]
	v_add_f64 v[48:49], v[166:167], v[48:49]
	v_mul_f64 v[166:167], v[144:145], s[22:23]
	v_mul_f64 v[144:145], v[144:145], s[10:11]
	v_add_f64 v[26:27], v[34:35], v[26:27]
	v_fma_f64 v[34:35], v[82:83], s[26:27], v[68:69]
	v_fma_f64 v[168:169], v[110:111], s[56:57], v[166:167]
	;; [unrolled: 1-line block ×3, first 2 shown]
	v_add_f64 v[26:27], v[52:53], v[26:27]
	v_fma_f64 v[52:53], v[106:107], s[48:49], v[134:135]
	v_add_f64 v[24:25], v[34:35], v[24:25]
	v_fma_f64 v[34:35], v[90:91], s[8:9], v[128:129]
	v_add_f64 v[58:59], v[168:169], v[58:59]
	v_mul_f64 v[168:169], v[112:113], s[44:45]
	v_mul_f64 v[112:113], v[112:113], s[56:57]
	v_add_f64 v[28:29], v[52:53], v[28:29]
	v_mul_f64 v[52:53], v[120:121], s[4:5]
	v_add_f64 v[24:25], v[34:35], v[24:25]
	v_add_f64 v[32:33], v[66:67], v[32:33]
	v_mul_f64 v[66:67], v[132:133], s[52:53]
	v_fma_f64 v[170:171], v[104:105], s[40:41], -v[168:169]
	v_fma_f64 v[64:65], v[104:105], s[40:41], v[168:169]
	v_add_f64 v[28:29], v[74:75], v[28:29]
	v_add_f64 v[48:49], v[170:171], v[48:49]
	v_mul_f64 v[170:171], v[126:127], s[56:57]
	v_add_f64 v[26:27], v[64:65], v[26:27]
	v_fma_f64 v[64:65], v[104:105], s[18:19], v[136:137]
	v_mul_f64 v[126:127], v[126:127], s[6:7]
	v_fma_f64 v[172:173], v[108:109], s[22:23], -v[170:171]
	v_fma_f64 v[68:69], v[108:109], s[22:23], v[170:171]
	v_add_f64 v[24:25], v[64:65], v[24:25]
	v_fma_f64 v[34:35], v[108:109], s[10:11], v[126:127]
	v_add_f64 v[48:49], v[172:173], v[48:49]
	v_fma_f64 v[172:173], v[78:79], s[38:39], v[96:97]
	v_fma_f64 v[96:97], v[78:79], s[28:29], v[96:97]
	v_add_f64 v[26:27], v[68:69], v[26:27]
	v_mul_f64 v[78:79], v[124:125], s[40:41]
	v_add_f64 v[72:73], v[172:173], v[72:73]
	v_fma_f64 v[172:173], v[88:89], s[4:5], v[100:101]
	v_add_f64 v[70:71], v[96:97], v[70:71]
	v_fma_f64 v[96:97], v[88:89], s[50:51], v[100:101]
	v_fma_f64 v[88:89], v[114:115], s[8:9], -v[52:53]
	v_fma_f64 v[52:53], v[114:115], s[8:9], v[52:53]
	v_fma_f64 v[100:101], v[130:131], s[28:29], v[158:159]
	;; [unrolled: 1-line block ×4, first 2 shown]
	v_add_f64 v[72:73], v[172:173], v[72:73]
	v_fma_f64 v[172:173], v[94:95], s[46:47], v[102:103]
	v_add_f64 v[70:71], v[96:97], v[70:71]
	v_fma_f64 v[96:97], v[94:95], s[36:37], v[102:103]
	v_mul_f64 v[94:95], v[132:133], s[30:31]
	v_add_f64 v[48:49], v[88:89], v[48:49]
	v_add_f64 v[72:73], v[172:173], v[72:73]
	v_fma_f64 v[172:173], v[106:107], s[56:57], v[116:117]
	v_add_f64 v[70:71], v[96:97], v[70:71]
	v_fma_f64 v[96:97], v[106:107], s[20:21], v[116:117]
	;; [unrolled: 2-line block ×4, first 2 shown]
	v_add_f64 v[72:73], v[172:173], v[72:73]
	v_fma_f64 v[172:173], v[76:77], s[26:27], -v[80:81]
	v_fma_f64 v[80:81], v[76:77], s[26:27], v[80:81]
	v_mul_f64 v[76:77], v[124:125], s[8:9]
	v_add_f64 v[70:71], v[96:97], v[70:71]
	v_mul_f64 v[96:97], v[140:141], s[18:19]
	v_add_f64 v[64:65], v[64:65], v[72:73]
	v_add_f64 v[46:47], v[172:173], v[46:47]
	v_fma_f64 v[172:173], v[82:83], s[8:9], -v[92:93]
	v_add_f64 v[56:57], v[80:81], v[56:57]
	v_fma_f64 v[80:81], v[82:83], s[8:9], v[92:93]
	v_fma_f64 v[82:83], v[108:109], s[34:35], v[142:143]
	;; [unrolled: 1-line block ×3, first 2 shown]
	v_mul_f64 v[92:93], v[140:141], s[24:25]
	v_fma_f64 v[76:77], v[118:119], s[50:51], v[76:77]
	v_fma_f64 v[72:73], v[122:123], s[24:25], -v[94:95]
	v_fma_f64 v[102:103], v[130:131], s[48:49], v[96:97]
	v_add_f64 v[70:71], v[78:79], v[70:71]
	v_fma_f64 v[96:97], v[130:131], s[16:17], v[96:97]
	v_fma_f64 v[94:95], v[122:123], s[24:25], v[94:95]
	v_add_f64 v[46:47], v[172:173], v[46:47]
	v_fma_f64 v[172:173], v[90:91], s[34:35], -v[98:99]
	v_add_f64 v[56:57], v[80:81], v[56:57]
	v_fma_f64 v[80:81], v[90:91], s[34:35], v[98:99]
	v_mul_f64 v[98:99], v[132:133], s[48:49]
	v_fma_f64 v[90:91], v[118:119], s[30:31], v[146:147]
	v_add_f64 v[24:25], v[82:83], v[24:25]
	v_add_f64 v[58:59], v[68:69], v[58:59]
	v_fma_f64 v[68:69], v[122:123], s[10:11], -v[66:67]
	v_fma_f64 v[88:89], v[130:131], s[30:31], v[92:93]
	v_add_f64 v[76:77], v[76:77], v[32:33]
	v_fma_f64 v[92:93], v[130:131], s[54:55], v[92:93]
	v_fma_f64 v[66:67], v[122:123], s[10:11], v[66:67]
	v_add_f64 v[32:33], v[221:222], v[40:41]
	v_add_f64 v[46:47], v[172:173], v[46:47]
	v_fma_f64 v[172:173], v[104:105], s[22:23], -v[112:113]
	v_add_f64 v[56:57], v[80:81], v[56:57]
	v_fma_f64 v[80:81], v[104:105], s[22:23], v[112:113]
	v_add_f64 v[104:105], v[52:53], v[26:27]
	v_add_f64 v[26:27], v[100:101], v[0:1]
	buffer_load_dword v0, off, s[60:63], 0  ; 4-byte Folded Reload
	v_fma_f64 v[78:79], v[122:123], s[18:19], -v[98:99]
	v_fma_f64 v[98:99], v[122:123], s[18:19], v[98:99]
	v_add_f64 v[90:91], v[90:91], v[28:29]
	v_add_f64 v[28:29], v[190:191], v[50:51]
	v_add_f64 v[40:41], v[68:69], v[150:151]
	v_add_f64 v[50:51], v[102:103], v[64:65]
	v_add_f64 v[46:47], v[172:173], v[46:47]
	v_fma_f64 v[172:173], v[108:109], s[10:11], -v[126:127]
	v_add_f64 v[56:57], v[80:81], v[56:57]
	v_mul_f64 v[80:81], v[120:121], s[44:45]
	v_add_f64 v[108:109], v[30:31], v[24:25]
	v_add_f64 v[30:31], v[198:199], v[42:43]
	v_add_f64 v[24:25], v[2:3], v[44:45]
	v_add_f64 v[44:45], v[72:73], v[48:49]
	v_add_f64 v[46:47], v[172:173], v[46:47]
	v_add_f64 v[34:35], v[34:35], v[56:57]
	v_mul_f64 v[56:57], v[140:141], s[10:11]
	v_fma_f64 v[74:75], v[114:115], s[40:41], -v[80:81]
	v_fma_f64 v[80:81], v[114:115], s[40:41], v[80:81]
	v_fma_f64 v[82:83], v[130:131], s[52:53], v[56:57]
	v_add_f64 v[74:75], v[74:75], v[46:47]
	v_add_f64 v[80:81], v[80:81], v[34:35]
	v_fma_f64 v[106:107], v[130:131], s[6:7], v[56:57]
	v_add_f64 v[34:35], v[223:224], v[38:39]
	v_add_f64 v[38:39], v[60:61], v[54:55]
	;; [unrolled: 1-line block ×11, first 2 shown]
	s_waitcnt vmcnt(0)
	v_mul_lo_u16 v0, v0, 17
	v_and_b32_e32 v0, 0xffff, v0
	v_add_lshl_u32 v0, v241, v0, 4
	ds_write_b128 v0, v[12:15]
	ds_write_b128 v0, v[28:31] offset:16
	ds_write_b128 v0, v[32:35] offset:32
	;; [unrolled: 1-line block ×16, first 2 shown]
.LBB0_7:
	s_or_b32 exec_lo, exec_lo, s33
	buffer_load_dword v38, off, s[60:63], 0 ; 4-byte Folded Reload
	v_mov_b32_e32 v14, 0xf0f1
	v_mov_b32_e32 v13, 4
	s_load_dwordx4 s[4:7], s[0:1], 0x0
	s_waitcnt vmcnt(0) lgkmcnt(0)
	s_barrier
	buffer_gl0_inv
	v_mov_b32_e32 v37, 34
	v_add_nc_u16 v8, v38, 0x55
	v_and_b32_e32 v0, 0xff, v38
	v_add_nc_u16 v9, v38, 0xaa
	v_add_co_u32 v2, null, 0x1a9, v38
	v_and_b32_e32 v1, 0xff, v8
	v_mul_lo_u16 v12, 0xf1, v0
	v_add_co_u32 v0, null, 0xff, v38
	v_and_b32_e32 v15, 0xff, v9
	v_mul_lo_u16 v11, 0xf1, v1
	v_lshrrev_b16 v23, 12, v12
	v_add_co_u32 v1, null, 0x154, v38
	v_mul_u32_u24_sdwa v16, v0, v14 dst_sel:DWORD dst_unused:UNUSED_PAD src0_sel:WORD_0 src1_sel:DWORD
	v_lshrrev_b16 v24, 12, v11
	v_mul_lo_u16 v3, v23, 17
	v_mul_u32_u24_sdwa v18, v1, v14 dst_sel:DWORD dst_unused:UNUSED_PAD src0_sel:WORD_0 src1_sel:DWORD
	v_mul_u32_u24_sdwa v19, v2, v14 dst_sel:DWORD dst_unused:UNUSED_PAD src0_sel:WORD_0 src1_sel:DWORD
	v_lshrrev_b32_e32 v28, 20, v16
	v_mul_lo_u16 v10, v24, 17
	v_sub_nc_u16 v25, v38, v3
	v_add_co_u32 v3, null, 0x1fe, v38
	v_lshrrev_b32_e32 v29, 20, v18
	v_sub_nc_u16 v26, v8, v10
	v_mul_lo_u16 v10, 0xf1, v15
	v_lshlrev_b32_sdwa v15, v13, v25 dst_sel:DWORD dst_unused:UNUSED_PAD src0_sel:DWORD src1_sel:BYTE_0
	v_mul_u32_u24_sdwa v14, v3, v14 dst_sel:DWORD dst_unused:UNUSED_PAD src0_sel:WORD_0 src1_sel:DWORD
	v_lshrrev_b32_e32 v30, 20, v19
	v_lshlrev_b32_sdwa v17, v13, v26 dst_sel:DWORD dst_unused:UNUSED_PAD src0_sel:DWORD src1_sel:BYTE_0
	v_lshrrev_b16 v27, 12, v10
	v_mul_lo_u16 v16, v28, 17
	v_lshrrev_b32_e32 v31, 20, v14
	s_clause 0x1
	global_load_dwordx4 v[43:46], v15, s[2:3]
	global_load_dwordx4 v[39:42], v17, s[2:3]
	v_mul_lo_u16 v14, v29, 17
	v_mul_lo_u16 v15, v27, 17
	v_sub_nc_u16 v33, v0, v16
	v_mul_lo_u16 v0, v31, 17
	v_add_lshl_u32 v255, v241, v38, 4
	v_sub_nc_u16 v34, v1, v14
	v_sub_nc_u16 v32, v9, v15
	v_mul_lo_u16 v15, v30, 17
	v_sub_nc_u16 v36, v3, v0
	v_mul_lo_u16 v23, v23, 34
	v_lshlrev_b32_sdwa v0, v13, v34 dst_sel:DWORD dst_unused:UNUSED_PAD src0_sel:DWORD src1_sel:WORD_0
	v_lshlrev_b32_sdwa v1, v13, v32 dst_sel:DWORD dst_unused:UNUSED_PAD src0_sel:DWORD src1_sel:BYTE_0
	v_sub_nc_u16 v35, v2, v15
	v_lshlrev_b32_sdwa v2, v13, v33 dst_sel:DWORD dst_unused:UNUSED_PAD src0_sel:DWORD src1_sel:WORD_0
	v_and_b32_e32 v23, 0xfe, v23
	v_mul_u32_u24_sdwa v24, v24, v37 dst_sel:DWORD dst_unused:UNUSED_PAD src0_sel:WORD_0 src1_sel:DWORD
	global_load_dwordx4 v[130:133], v1, s[2:3]
	v_mul_u32_u24_sdwa v27, v27, v37 dst_sel:DWORD dst_unused:UNUSED_PAD src0_sel:WORD_0 src1_sel:DWORD
	global_load_dwordx4 v[134:137], v2, s[2:3]
	v_lshlrev_b32_sdwa v1, v13, v35 dst_sel:DWORD dst_unused:UNUSED_PAD src0_sel:DWORD src1_sel:WORD_0
	v_lshlrev_b32_sdwa v2, v13, v36 dst_sel:DWORD dst_unused:UNUSED_PAD src0_sel:DWORD src1_sel:WORD_0
	s_clause 0x2
	global_load_dwordx4 v[138:141], v0, s[2:3]
	global_load_dwordx4 v[126:129], v1, s[2:3]
	;; [unrolled: 1-line block ×3, first 2 shown]
	ds_read_b128 v[13:16], v255 offset:9520
	ds_read_b128 v[17:20], v255 offset:10880
	;; [unrolled: 1-line block ×8, first 2 shown]
	ds_read_b128 v[76:79], v255
	ds_read_b128 v[80:83], v255 offset:1360
	ds_read_b128 v[88:91], v255 offset:2720
	;; [unrolled: 1-line block ×5, first 2 shown]
	v_add_nc_u32_sdwa v23, v23, v25 dst_sel:DWORD dst_unused:UNUSED_PAD src0_sel:DWORD src1_sel:BYTE_0
	v_mad_u16 v25, v28, 34, v33
	v_mad_u16 v28, v29, 34, v34
	v_mad_u16 v29, v30, 34, v35
	v_cmp_gt_u16_e64 s0, 0x44, v38
	v_add_lshl_u32 v216, v241, v23, 4
	s_waitcnt vmcnt(6) lgkmcnt(13)
	v_mul_f64 v[0:1], v[15:16], v[45:46]
	s_waitcnt vmcnt(5) lgkmcnt(12)
	v_mul_f64 v[21:22], v[19:20], v[41:42]
	v_mul_f64 v[2:3], v[13:14], v[45:46]
	;; [unrolled: 1-line block ×3, first 2 shown]
	s_waitcnt vmcnt(4) lgkmcnt(11)
	v_mul_f64 v[102:103], v[54:55], v[132:133]
	v_mul_f64 v[104:105], v[52:53], v[132:133]
	s_waitcnt vmcnt(3) lgkmcnt(10)
	v_mul_f64 v[106:107], v[58:59], v[136:137]
	v_mul_f64 v[112:113], v[56:57], v[136:137]
	v_fma_f64 v[0:1], v[13:14], v[43:44], -v[0:1]
	s_waitcnt vmcnt(2) lgkmcnt(9)
	v_mul_f64 v[114:115], v[62:63], v[140:141]
	s_waitcnt vmcnt(1) lgkmcnt(8)
	v_mul_f64 v[118:119], v[66:67], v[128:129]
	;; [unrolled: 2-line block ×3, first 2 shown]
	buffer_store_dword v43, off, s[60:63], 0 offset:40 ; 4-byte Folded Spill
	buffer_store_dword v44, off, s[60:63], 0 offset:44 ; 4-byte Folded Spill
	;; [unrolled: 1-line block ×4, first 2 shown]
	v_fma_f64 v[17:18], v[17:18], v[39:40], -v[21:22]
	buffer_store_dword v39, off, s[60:63], 0 offset:24 ; 4-byte Folded Spill
	buffer_store_dword v40, off, s[60:63], 0 offset:28 ; 4-byte Folded Spill
	;; [unrolled: 1-line block ×4, first 2 shown]
	v_mul_f64 v[116:117], v[60:61], v[140:141]
	v_mul_f64 v[120:121], v[64:65], v[128:129]
	;; [unrolled: 1-line block ×3, first 2 shown]
	v_fma_f64 v[21:22], v[52:53], v[130:131], -v[102:103]
	buffer_store_dword v130, off, s[60:63], 0 offset:88 ; 4-byte Folded Spill
	buffer_store_dword v131, off, s[60:63], 0 offset:92 ; 4-byte Folded Spill
	;; [unrolled: 1-line block ×4, first 2 shown]
	v_fma_f64 v[56:57], v[56:57], v[134:135], -v[106:107]
	buffer_store_dword v134, off, s[60:63], 0 offset:104 ; 4-byte Folded Spill
	buffer_store_dword v135, off, s[60:63], 0 offset:108 ; 4-byte Folded Spill
	;; [unrolled: 1-line block ×4, first 2 shown]
	s_waitcnt lgkmcnt(5)
	v_add_f64 v[13:14], v[76:77], -v[0:1]
	v_fma_f64 v[60:61], v[60:61], v[138:139], -v[114:115]
	buffer_store_dword v138, off, s[60:63], 0 offset:120 ; 4-byte Folded Spill
	buffer_store_dword v139, off, s[60:63], 0 offset:124 ; 4-byte Folded Spill
	buffer_store_dword v140, off, s[60:63], 0 offset:128 ; 4-byte Folded Spill
	buffer_store_dword v141, off, s[60:63], 0 offset:132 ; 4-byte Folded Spill
	v_fma_f64 v[64:65], v[64:65], v[126:127], -v[118:119]
	buffer_store_dword v126, off, s[60:63], 0 offset:72 ; 4-byte Folded Spill
	buffer_store_dword v127, off, s[60:63], 0 offset:76 ; 4-byte Folded Spill
	buffer_store_dword v128, off, s[60:63], 0 offset:80 ; 4-byte Folded Spill
	buffer_store_dword v129, off, s[60:63], 0 offset:84 ; 4-byte Folded Spill
	;; [unrolled: 5-line block ×3, first 2 shown]
	s_waitcnt lgkmcnt(4)
	v_add_f64 v[17:18], v[80:81], -v[17:18]
	v_mad_u16 v0, v31, 34, v36
	v_add_nc_u32_sdwa v1, v24, v26 dst_sel:DWORD dst_unused:UNUSED_PAD src0_sel:DWORD src1_sel:BYTE_0
	s_waitcnt lgkmcnt(0)
	s_waitcnt_vscnt null, 0x0
	s_barrier
	buffer_gl0_inv
	v_and_b32_e32 v0, 0xffff, v0
	v_add_lshl_u32 v23, v241, v1, 4
	v_add_lshl_u32 v0, v241, v0, 4
	v_add_f64 v[52:53], v[88:89], -v[21:22]
	v_add_f64 v[56:57], v[92:93], -v[56:57]
	v_and_b32_e32 v21, 0xffff, v28
	v_and_b32_e32 v22, 0xffff, v29
	v_add_f64 v[60:61], v[96:97], -v[60:61]
	v_fma_f64 v[2:3], v[15:16], v[43:44], v[2:3]
	v_fma_f64 v[19:20], v[19:20], v[39:40], v[100:101]
	v_add_f64 v[100:101], v[108:109], -v[64:65]
	v_fma_f64 v[64:65], v[76:77], 2.0, -v[13:14]
	v_fma_f64 v[76:77], v[88:89], 2.0, -v[52:53]
	v_fma_f64 v[54:55], v[54:55], v[130:131], v[104:105]
	v_add_f64 v[104:105], v[72:73], -v[68:69]
	v_fma_f64 v[58:59], v[58:59], v[134:135], v[112:113]
	v_fma_f64 v[68:69], v[80:81], 2.0, -v[17:18]
	v_fma_f64 v[80:81], v[92:93], 2.0, -v[56:57]
	v_fma_f64 v[62:63], v[62:63], v[138:139], v[116:117]
	v_fma_f64 v[92:93], v[96:97], 2.0, -v[60:61]
	v_fma_f64 v[66:67], v[66:67], v[126:127], v[120:121]
	v_add_f64 v[15:16], v[78:79], -v[2:3]
	v_fma_f64 v[70:71], v[70:71], v[47:48], v[124:125]
	v_add_f64 v[19:20], v[82:83], -v[19:20]
	v_fma_f64 v[88:89], v[108:109], 2.0, -v[100:101]
	v_add_nc_u32_sdwa v2, v27, v32 dst_sel:DWORD dst_unused:UNUSED_PAD src0_sel:DWORD src1_sel:BYTE_0
	v_and_b32_e32 v3, 0xffff, v25
	v_add_lshl_u32 v1, v241, v2, 4
	v_add_f64 v[54:55], v[90:91], -v[54:55]
	v_fma_f64 v[108:109], v[72:73], 2.0, -v[104:105]
	v_add_f64 v[58:59], v[94:95], -v[58:59]
	v_add_lshl_u32 v73, v241, v22, 4
	v_add_f64 v[62:63], v[98:99], -v[62:63]
	v_add_f64 v[102:103], v[110:111], -v[66:67]
	v_fma_f64 v[66:67], v[78:79], 2.0, -v[15:16]
	v_add_f64 v[106:107], v[74:75], -v[70:71]
	v_fma_f64 v[70:71], v[82:83], 2.0, -v[19:20]
	ds_write_b128 v216, v[13:16] offset:272
	ds_write_b128 v216, v[64:67]
	ds_write_b128 v23, v[17:20] offset:272
	v_fma_f64 v[78:79], v[90:91], 2.0, -v[54:55]
	v_fma_f64 v[82:83], v[94:95], 2.0, -v[58:59]
	;; [unrolled: 1-line block ×5, first 2 shown]
	v_add_lshl_u32 v75, v241, v3, 4
	v_add_lshl_u32 v74, v241, v21, 4
	buffer_store_dword v23, off, s[60:63], 0 offset:140 ; 4-byte Folded Spill
	ds_write_b128 v23, v[68:71]
	ds_write_b128 v1, v[76:79]
	buffer_store_dword v1, off, s[60:63], 0 offset:136 ; 4-byte Folded Spill
	ds_write_b128 v1, v[52:55] offset:272
	ds_write_b128 v75, v[80:83]
	ds_write_b128 v75, v[56:59] offset:272
	ds_write_b128 v74, v[92:95]
	;; [unrolled: 2-line block ×4, first 2 shown]
	buffer_store_dword v0, off, s[60:63], 0 offset:264 ; 4-byte Folded Spill
	ds_write_b128 v0, v[104:107] offset:272
	s_waitcnt lgkmcnt(0)
	s_waitcnt_vscnt null, 0x0
	s_barrier
	buffer_gl0_inv
	ds_read_b128 v[96:99], v255
	ds_read_b128 v[92:95], v255 offset:1360
	ds_read_b128 v[136:139], v255 offset:3808
	;; [unrolled: 1-line block ×9, first 2 shown]
	s_and_saveexec_b32 s1, s0
	s_cbranch_execz .LBB0_9
; %bb.8:
	ds_read_b128 v[88:91], v255 offset:2720
	ds_read_b128 v[100:103], v255 offset:6528
	;; [unrolled: 1-line block ×5, first 2 shown]
.LBB0_9:
	s_or_b32 exec_lo, exec_lo, s1
	buffer_load_dword v2, off, s[60:63], 0  ; 4-byte Folded Reload
	v_lshrrev_b16 v24, 13, v12
	v_lshrrev_b16 v144, 13, v11
	;; [unrolled: 1-line block ×3, first 2 shown]
	v_mov_b32_e32 v1, 6
	s_mov_b32 s16, 0x134454ff
	v_mul_lo_u16 v0, v24, 34
	s_mov_b32 s17, 0x3fee6f0e
	buffer_store_dword v3, off, s[60:63], 0 offset:16 ; 4-byte Folded Spill
	s_mov_b32 s21, 0xbfee6f0e
	s_mov_b32 s20, s16
	s_mov_b32 s8, 0x4755a5e
	s_mov_b32 s9, 0x3fe2cf23
	s_mov_b32 s19, 0xbfe2cf23
	s_mov_b32 s18, s8
	s_mov_b32 s10, 0x372fe950
	s_mov_b32 s11, 0x3fd3c6ef
	v_mov_b32_e32 v146, 0xaa
	v_mul_u32_u24_sdwa v24, v24, v146 dst_sel:DWORD dst_unused:UNUSED_PAD src0_sel:WORD_0 src1_sel:DWORD
	s_waitcnt vmcnt(0)
	v_sub_nc_u16 v145, v2, v0
	v_mul_lo_u16 v0, v144, 34
	v_lshlrev_b32_sdwa v2, v1, v145 dst_sel:DWORD dst_unused:UNUSED_PAD src0_sel:DWORD src1_sel:BYTE_0
	v_sub_nc_u16 v25, v8, v0
	v_mul_lo_u16 v0, v3, 34
	s_clause 0x1
	global_load_dwordx4 v[62:65], v2, s[2:3] offset:272
	global_load_dwordx4 v[58:61], v2, s[2:3] offset:288
	v_lshlrev_b32_sdwa v3, v1, v25 dst_sel:DWORD dst_unused:UNUSED_PAD src0_sel:DWORD src1_sel:BYTE_0
	v_sub_nc_u16 v0, v9, v0
	s_clause 0x3
	global_load_dwordx4 v[50:53], v2, s[2:3] offset:304
	global_load_dwordx4 v[54:57], v2, s[2:3] offset:320
	global_load_dwordx4 v[76:79], v3, s[2:3] offset:272
	global_load_dwordx4 v[42:45], v3, s[2:3] offset:288
	buffer_store_dword v0, off, s[60:63], 0 offset:20 ; 4-byte Folded Spill
	v_lshlrev_b32_sdwa v0, v1, v0 dst_sel:DWORD dst_unused:UNUSED_PAD src0_sel:DWORD src1_sel:BYTE_0
	s_clause 0x5
	global_load_dwordx4 v[46:49], v3, s[2:3] offset:304
	global_load_dwordx4 v[80:83], v3, s[2:3] offset:320
	;; [unrolled: 1-line block ×6, first 2 shown]
	s_waitcnt vmcnt(11) lgkmcnt(7)
	v_mul_f64 v[0:1], v[138:139], v[64:65]
	s_waitcnt vmcnt(10) lgkmcnt(5)
	v_mul_f64 v[8:9], v[142:143], v[60:61]
	v_mul_f64 v[2:3], v[136:137], v[64:65]
	s_waitcnt vmcnt(9) lgkmcnt(3)
	v_mul_f64 v[12:13], v[130:131], v[52:53]
	s_waitcnt vmcnt(8) lgkmcnt(1)
	v_mul_f64 v[18:19], v[132:133], v[56:57]
	v_mul_f64 v[10:11], v[140:141], v[60:61]
	s_waitcnt vmcnt(7)
	v_mul_f64 v[20:21], v[114:115], v[78:79]
	s_waitcnt vmcnt(6)
	;; [unrolled: 2-line block ×6, first 2 shown]
	v_mul_f64 v[167:168], v[106:107], v[36:37]
	v_mul_f64 v[14:15], v[128:129], v[52:53]
	v_mul_f64 v[16:17], v[134:135], v[56:57]
	v_mul_f64 v[22:23], v[112:113], v[78:79]
	v_mul_f64 v[149:150], v[116:117], v[44:45]
	v_mul_f64 v[153:154], v[120:121], v[48:49]
	v_mul_f64 v[161:162], v[100:101], v[28:29]
	v_mul_f64 v[165:166], v[108:109], v[40:41]
	v_mul_f64 v[169:170], v[104:105], v[36:37]
	s_waitcnt vmcnt(0) lgkmcnt(0)
	v_mul_f64 v[171:172], v[86:87], v[32:33]
	v_mul_f64 v[173:174], v[84:85], v[32:33]
	v_fma_f64 v[0:1], v[136:137], v[62:63], -v[0:1]
	buffer_store_dword v62, off, s[60:63], 0 offset:224 ; 4-byte Folded Spill
	buffer_store_dword v63, off, s[60:63], 0 offset:228 ; 4-byte Folded Spill
	;; [unrolled: 1-line block ×4, first 2 shown]
	v_fma_f64 v[136:137], v[140:141], v[58:59], -v[8:9]
	buffer_store_dword v58, off, s[60:63], 0 offset:208 ; 4-byte Folded Spill
	buffer_store_dword v59, off, s[60:63], 0 offset:212 ; 4-byte Folded Spill
	;; [unrolled: 1-line block ×4, first 2 shown]
	v_fma_f64 v[128:129], v[128:129], v[50:51], -v[12:13]
	v_fma_f64 v[18:19], v[134:135], v[54:55], v[18:19]
	buffer_store_dword v50, off, s[60:63], 0 offset:176 ; 4-byte Folded Spill
	buffer_store_dword v51, off, s[60:63], 0 offset:180 ; 4-byte Folded Spill
	;; [unrolled: 1-line block ×8, first 2 shown]
	v_fma_f64 v[20:21], v[112:113], v[76:77], -v[20:21]
	v_fma_f64 v[116:117], v[116:117], v[42:43], -v[147:148]
	buffer_store_dword v42, off, s[60:63], 0 offset:144 ; 4-byte Folded Spill
	buffer_store_dword v43, off, s[60:63], 0 offset:148 ; 4-byte Folded Spill
	buffer_store_dword v44, off, s[60:63], 0 offset:152 ; 4-byte Folded Spill
	buffer_store_dword v45, off, s[60:63], 0 offset:156 ; 4-byte Folded Spill
	v_fma_f64 v[120:121], v[120:121], v[46:47], -v[151:152]
	buffer_store_dword v46, off, s[60:63], 0 offset:160 ; 4-byte Folded Spill
	buffer_store_dword v47, off, s[60:63], 0 offset:164 ; 4-byte Folded Spill
	buffer_store_dword v48, off, s[60:63], 0 offset:168 ; 4-byte Folded Spill
	buffer_store_dword v49, off, s[60:63], 0 offset:172 ; 4-byte Folded Spill
	;; [unrolled: 5-line block ×5, first 2 shown]
	v_mul_f64 v[155:156], v[126:127], v[82:83]
	v_fma_f64 v[8:9], v[84:85], v[30:31], -v[171:172]
	buffer_store_dword v30, off, s[60:63], 0 offset:284 ; 4-byte Folded Spill
	buffer_store_dword v31, off, s[60:63], 0 offset:288 ; 4-byte Folded Spill
	;; [unrolled: 1-line block ×4, first 2 shown]
	v_mul_f64 v[157:158], v[124:125], v[82:83]
	v_fma_f64 v[22:23], v[114:115], v[76:77], v[22:23]
	v_add_f64 v[108:109], v[96:97], v[0:1]
	v_add_f64 v[140:141], v[0:1], -v[136:137]
	s_waitcnt_vscnt null, 0x0
	s_barrier
	buffer_gl0_inv
	v_add_f64 v[167:168], v[92:93], v[20:21]
	v_add_f64 v[175:176], v[20:21], -v[116:117]
	v_add_f64 v[181:182], v[116:117], -v[20:21]
	;; [unrolled: 1-line block ×4, first 2 shown]
	v_add_f64 v[199:200], v[100:101], v[12:13]
	v_fma_f64 v[124:125], v[124:125], v[80:81], -v[155:156]
	v_add_f64 v[203:204], v[8:9], -v[12:13]
	v_fma_f64 v[126:127], v[126:127], v[80:81], v[157:158]
	v_add_f64 v[157:158], v[136:137], -v[128:129]
	v_add_f64 v[185:186], v[94:95], v[22:23]
	v_add_f64 v[108:109], v[108:109], v[136:137]
	;; [unrolled: 1-line block ×3, first 2 shown]
	v_add_f64 v[177:178], v[124:125], -v[120:121]
	v_add_f64 v[183:184], v[120:121], -v[124:125]
	v_add_f64 v[195:196], v[22:23], v[126:127]
	v_add_f64 v[171:172], v[22:23], -v[126:127]
	v_add_f64 v[20:21], v[20:21], -v[124:125]
	v_add_f64 v[108:109], v[108:109], v[128:129]
	v_fma_f64 v[2:3], v[138:139], v[62:63], v[2:3]
	v_fma_f64 v[138:139], v[142:143], v[58:59], v[10:11]
	;; [unrolled: 1-line block ×3, first 2 shown]
	v_fma_f64 v[16:17], v[132:133], v[54:55], -v[16:17]
	v_fma_f64 v[118:119], v[118:119], v[42:43], v[149:150]
	v_add_f64 v[149:150], v[136:137], -v[0:1]
	v_fma_f64 v[122:123], v[122:123], v[46:47], v[153:154]
	v_fma_f64 v[114:115], v[102:103], v[26:27], v[161:162]
	;; [unrolled: 1-line block ×3, first 2 shown]
	v_add_f64 v[110:111], v[136:137], v[128:129]
	v_fma_f64 v[14:15], v[106:107], v[34:35], v[169:170]
	v_add_f64 v[169:170], v[116:117], v[120:121]
	v_add_f64 v[106:107], v[100:101], -v[12:13]
	v_fma_f64 v[10:11], v[86:87], v[30:31], v[173:174]
	v_add_f64 v[86:87], v[112:113], -v[8:9]
	v_add_f64 v[132:133], v[2:3], -v[18:19]
	v_add_f64 v[153:154], v[98:99], v[2:3]
	v_add_f64 v[159:160], v[2:3], -v[138:139]
	v_add_f64 v[163:164], v[2:3], v[18:19]
	;; [unrolled: 2-line block ×4, first 2 shown]
	v_add_f64 v[151:152], v[128:129], -v[16:17]
	v_add_f64 v[161:162], v[18:19], -v[130:131]
	;; [unrolled: 1-line block ×3, first 2 shown]
	v_add_f64 v[187:188], v[118:119], v[122:123]
	v_add_f64 v[134:135], v[138:139], -v[130:131]
	v_add_f64 v[0:1], v[0:1], -v[16:17]
	;; [unrolled: 1-line block ×5, first 2 shown]
	v_add_f64 v[205:206], v[102:103], v[14:15]
	v_fma_f64 v[110:111], v[110:111], -0.5, v[96:97]
	v_add_f64 v[22:23], v[118:119], -v[22:23]
	v_add_f64 v[84:85], v[114:115], -v[10:11]
	;; [unrolled: 1-line block ×4, first 2 shown]
	v_add_f64 v[138:139], v[153:154], v[138:139]
	v_fma_f64 v[153:154], v[169:170], -0.5, v[92:93]
	v_add_f64 v[209:210], v[10:11], -v[14:15]
	v_add_f64 v[116:117], v[167:168], v[116:117]
	v_add_f64 v[118:119], v[185:186], v[118:119]
	;; [unrolled: 1-line block ×3, first 2 shown]
	v_fma_f64 v[140:141], v[147:148], -0.5, v[96:97]
	v_add_f64 v[142:143], v[149:150], v[151:152]
	v_fma_f64 v[147:148], v[155:156], -0.5, v[98:99]
	v_add_f64 v[149:150], v[159:160], v[161:162]
	;; [unrolled: 2-line block ×3, first 2 shown]
	v_fma_f64 v[155:156], v[179:180], -0.5, v[92:93]
	v_fma_f64 v[161:162], v[187:188], -0.5, v[94:95]
	;; [unrolled: 1-line block ×5, first 2 shown]
	v_add_f64 v[159:160], v[175:176], v[177:178]
	v_add_f64 v[163:164], v[181:182], v[183:184]
	;; [unrolled: 1-line block ×3, first 2 shown]
	v_fma_f64 v[169:170], v[132:133], s[16:17], v[110:111]
	v_fma_f64 v[110:111], v[132:133], s[20:21], v[110:111]
	v_add_f64 v[197:198], v[122:123], -v[126:127]
	v_fma_f64 v[181:182], v[171:172], s[16:17], v[153:154]
	v_fma_f64 v[153:154], v[171:172], s[20:21], v[153:154]
	v_add_f64 v[92:93], v[201:202], v[203:204]
	v_add_f64 v[94:95], v[207:208], v[209:210]
	;; [unrolled: 1-line block ×3, first 2 shown]
	v_fma_f64 v[175:176], v[134:135], s[20:21], v[140:141]
	v_fma_f64 v[140:141], v[134:135], s[16:17], v[140:141]
	;; [unrolled: 1-line block ×14, first 2 shown]
	v_add_f64 v[116:117], v[116:117], v[120:121]
	v_add_f64 v[118:119], v[118:119], v[122:123]
	v_fma_f64 v[120:121], v[134:135], s[8:9], v[169:170]
	v_fma_f64 v[122:123], v[134:135], s[18:19], v[110:111]
	v_add_f64 v[22:23], v[22:23], v[197:198]
	v_add_f64 v[108:109], v[108:109], v[16:17]
	;; [unrolled: 1-line block ×3, first 2 shown]
	v_fma_f64 v[130:131], v[132:133], s[8:9], v[175:176]
	v_fma_f64 v[132:133], v[132:133], s[18:19], v[140:141]
	;; [unrolled: 1-line block ×16, first 2 shown]
	v_add_f64 v[116:117], v[116:117], v[124:125]
	v_add_f64 v[118:119], v[118:119], v[126:127]
	v_fma_f64 v[120:121], v[136:137], s[10:11], v[120:121]
	v_fma_f64 v[124:125], v[136:137], s[10:11], v[122:123]
	;; [unrolled: 1-line block ×14, first 2 shown]
	v_mul_u32_u24_sdwa v0, v144, v146 dst_sel:DWORD dst_unused:UNUSED_PAD src0_sel:WORD_0 src1_sel:DWORD
	v_fma_f64 v[132:133], v[92:93], s[10:11], v[165:166]
	v_fma_f64 v[134:135], v[94:95], s[10:11], v[171:172]
	;; [unrolled: 1-line block ×4, first 2 shown]
	v_add_nc_u32_sdwa v1, v24, v145 dst_sel:DWORD dst_unused:UNUSED_PAD src0_sel:DWORD src1_sel:BYTE_0
	v_add_nc_u32_sdwa v0, v0, v25 dst_sel:DWORD dst_unused:UNUSED_PAD src0_sel:DWORD src1_sel:BYTE_0
	v_add_lshl_u32 v1, v241, v1, 4
	v_add_lshl_u32 v0, v241, v0, 4
	ds_write_b128 v1, v[108:111]
	ds_write_b128 v1, v[120:123] offset:544
	ds_write_b128 v1, v[128:131] offset:1088
	;; [unrolled: 1-line block ×3, first 2 shown]
	buffer_store_dword v1, off, s[60:63], 0 offset:260 ; 4-byte Folded Spill
	ds_write_b128 v1, v[124:127] offset:2176
	ds_write_b128 v0, v[116:119]
	ds_write_b128 v0, v[140:143] offset:544
	ds_write_b128 v0, v[151:154] offset:1088
	;; [unrolled: 1-line block ×3, first 2 shown]
	buffer_store_dword v0, off, s[60:63], 0 offset:256 ; 4-byte Folded Spill
	ds_write_b128 v0, v[147:150] offset:2176
	s_and_saveexec_b32 s1, s0
	s_cbranch_execz .LBB0_11
; %bb.10:
	v_add_f64 v[0:1], v[114:115], v[10:11]
	v_mul_f64 v[16:17], v[86:87], s[16:17]
	v_mul_f64 v[20:21], v[84:85], s[16:17]
	v_add_f64 v[2:3], v[112:113], v[8:9]
	v_add_f64 v[18:19], v[90:91], v[114:115]
	;; [unrolled: 1-line block ×3, first 2 shown]
	v_add_f64 v[108:109], v[102:103], -v[114:115]
	v_add_f64 v[110:111], v[14:15], -v[10:11]
	;; [unrolled: 1-line block ×3, first 2 shown]
	v_mul_f64 v[94:95], v[94:95], s[10:11]
	v_add_f64 v[114:115], v[12:13], -v[8:9]
	v_mul_f64 v[92:93], v[92:93], s[10:11]
	v_fma_f64 v[0:1], v[0:1], -0.5, v[90:91]
	v_mul_f64 v[90:91], v[106:107], s[8:9]
	v_add_f64 v[16:17], v[98:99], -v[16:17]
	v_add_f64 v[20:21], v[96:97], v[20:21]
	v_fma_f64 v[2:3], v[2:3], -0.5, v[88:89]
	v_mul_f64 v[88:89], v[104:105], s[8:9]
	v_add_f64 v[18:19], v[18:19], v[102:103]
	v_add_f64 v[22:23], v[22:23], v[100:101]
	v_add_f64 v[100:101], v[108:109], v[110:111]
	v_add_f64 v[102:103], v[112:113], v[114:115]
	v_fma_f64 v[96:97], v[106:107], s[20:21], v[0:1]
	v_fma_f64 v[0:1], v[106:107], s[16:17], v[0:1]
	v_add_f64 v[16:17], v[16:17], -v[90:91]
	v_fma_f64 v[98:99], v[104:105], s[20:21], v[2:3]
	v_fma_f64 v[2:3], v[104:105], s[16:17], v[2:3]
	v_add_f64 v[14:15], v[18:19], v[14:15]
	v_add_f64 v[18:19], v[88:89], v[20:21]
	v_add_f64 v[20:21], v[22:23], v[12:13]
	v_fma_f64 v[22:23], v[86:87], s[8:9], v[96:97]
	v_fma_f64 v[0:1], v[86:87], s[18:19], v[0:1]
	v_add_f64 v[12:13], v[94:95], v[16:17]
	v_fma_f64 v[88:89], v[84:85], s[8:9], v[98:99]
	v_fma_f64 v[2:3], v[84:85], s[18:19], v[2:3]
	v_add_f64 v[86:87], v[14:15], v[10:11]
	v_add_f64 v[10:11], v[92:93], v[18:19]
	;; [unrolled: 1-line block ×3, first 2 shown]
	v_fma_f64 v[90:91], v[100:101], s[10:11], v[22:23]
	v_fma_f64 v[94:95], v[100:101], s[10:11], v[0:1]
	s_clause 0x1
	buffer_load_dword v0, off, s[60:63], 0 offset:16
	buffer_load_dword v1, off, s[60:63], 0 offset:20
	v_fma_f64 v[92:93], v[102:103], s[10:11], v[88:89]
	v_fma_f64 v[88:89], v[102:103], s[10:11], v[2:3]
	s_waitcnt vmcnt(1)
	v_mul_u32_u24_sdwa v0, v0, v146 dst_sel:DWORD dst_unused:UNUSED_PAD src0_sel:WORD_0 src1_sel:DWORD
	s_waitcnt vmcnt(0)
	v_add_nc_u32_sdwa v0, v0, v1 dst_sel:DWORD dst_unused:UNUSED_PAD src0_sel:DWORD src1_sel:BYTE_0
	v_add_lshl_u32 v0, v241, v0, 4
	ds_write_b128 v0, v[84:87]
	ds_write_b128 v0, v[10:13] offset:544
	ds_write_b128 v0, v[92:95] offset:1088
	;; [unrolled: 1-line block ×4, first 2 shown]
.LBB0_11:
	s_or_b32 exec_lo, exec_lo, s1
	buffer_load_dword v24, off, s[60:63], 0 ; 4-byte Folded Reload
	s_waitcnt vmcnt(0) lgkmcnt(0)
	s_waitcnt_vscnt null, 0x0
	s_barrier
	buffer_gl0_inv
	s_mov_b32 s8, 0x429ad128
	s_mov_b32 s9, 0x3febfeb5
	s_mov_b32 s10, 0xb247c609
	s_mov_b32 s11, 0x3fd5d0dc
	s_mov_b32 s17, 0xbfd5d0dc
	s_mov_b32 s16, s10
	s_mov_b32 s18, 0x36b3c0b5
	s_mov_b32 s22, 0x37e14327
	s_mov_b32 s19, 0x3fac98ee
	s_mov_b32 s23, 0x3fe948f6
	s_mov_b32 s20, 0x5476071b
	s_mov_b32 s21, 0x3fe77f67
	s_mov_b32 s25, 0xbfe77f67
	s_mov_b32 s24, s20
	v_mad_u64_u32 v[0:1], null, 0x60, v24, s[2:3]
	s_mov_b32 s2, 0xe976ee23
	s_mov_b32 s3, 0xbfe11646
	v_add_co_u32 v2, s1, 0x800, v0
	v_add_co_ci_u32_e64 v3, s1, 0, v1, s1
	v_add_co_u32 v8, s1, 0x990, v0
	v_add_co_ci_u32_e64 v9, s1, 0, v1, s1
	;; [unrolled: 2-line block ×4, first 2 shown]
	s_clause 0x4
	global_load_dwordx4 v[88:91], v[2:3], off offset:400
	global_load_dwordx4 v[92:95], v[8:9], off offset:16
	;; [unrolled: 1-line block ×5, first 2 shown]
	v_add_co_u32 v2, s1, 0x29b0, v0
	v_add_co_ci_u32_e64 v3, s1, 0, v1, s1
	v_add_co_u32 v0, s1, 0x2970, v0
	v_add_co_ci_u32_e64 v1, s1, 0, v1, s1
	s_clause 0x6
	global_load_dwordx4 v[112:115], v[2:3], off offset:16
	global_load_dwordx4 v[108:111], v[0:1], off offset:16
	;; [unrolled: 1-line block ×7, first 2 shown]
	ds_read_b128 v[8:11], v255 offset:2720
	ds_read_b128 v[12:15], v255 offset:5440
	;; [unrolled: 1-line block ×12, first 2 shown]
	s_waitcnt vmcnt(11) lgkmcnt(11)
	v_mul_f64 v[0:1], v[10:11], v[90:91]
	s_waitcnt vmcnt(10) lgkmcnt(10)
	v_mul_f64 v[16:17], v[14:15], v[94:95]
	;; [unrolled: 2-line block ×3, first 2 shown]
	v_mul_f64 v[182:183], v[144:145], v[27:28]
	v_mul_f64 v[2:3], v[8:9], v[90:91]
	;; [unrolled: 1-line block ×5, first 2 shown]
	s_waitcnt vmcnt(6) lgkmcnt(6)
	v_mul_f64 v[184:185], v[150:151], v[114:115]
	v_mul_f64 v[186:187], v[148:149], v[114:115]
	;; [unrolled: 1-line block ×4, first 2 shown]
	v_fma_f64 v[0:1], v[8:9], v[88:89], -v[0:1]
	s_waitcnt vmcnt(5) lgkmcnt(5)
	v_mul_f64 v[8:9], v[154:155], v[110:111]
	v_fma_f64 v[144:145], v[144:145], v[25:26], -v[180:181]
	buffer_store_dword v25, off, s[60:63], 0 offset:240 ; 4-byte Folded Spill
	buffer_store_dword v26, off, s[60:63], 0 offset:244 ; 4-byte Folded Spill
	;; [unrolled: 1-line block ×4, first 2 shown]
	v_fma_f64 v[12:13], v[12:13], v[92:93], -v[16:17]
	s_waitcnt vmcnt(4) lgkmcnt(3)
	v_mul_f64 v[16:17], v[158:159], v[122:123]
	v_fma_f64 v[2:3], v[10:11], v[88:89], v[2:3]
	v_mul_f64 v[10:11], v[152:153], v[110:111]
	v_fma_f64 v[14:15], v[14:15], v[92:93], v[18:19]
	v_mul_f64 v[18:19], v[156:157], v[122:123]
	v_fma_f64 v[20:21], v[136:137], v[100:101], -v[20:21]
	v_fma_f64 v[22:23], v[138:139], v[100:101], v[22:23]
	s_waitcnt vmcnt(3)
	v_mul_f64 v[136:137], v[162:163], v[130:131]
	v_mul_f64 v[138:139], v[160:161], v[130:131]
	s_waitcnt vmcnt(1) lgkmcnt(1)
	v_mul_f64 v[180:181], v[170:171], v[106:107]
	v_fma_f64 v[148:149], v[148:149], v[112:113], -v[184:185]
	v_fma_f64 v[150:151], v[150:151], v[112:113], v[186:187]
	s_waitcnt vmcnt(0) lgkmcnt(0)
	v_mul_f64 v[184:185], v[174:175], v[118:119]
	v_mul_f64 v[186:187], v[172:173], v[118:119]
	v_fma_f64 v[140:141], v[140:141], v[96:97], -v[176:177]
	v_fma_f64 v[142:143], v[142:143], v[96:97], v[178:179]
	v_mul_f64 v[176:177], v[166:167], v[126:127]
	v_mul_f64 v[178:179], v[164:165], v[126:127]
	v_fma_f64 v[8:9], v[152:153], v[108:109], -v[8:9]
	v_fma_f64 v[16:17], v[156:157], v[120:121], -v[16:17]
	v_fma_f64 v[152:153], v[154:155], v[108:109], v[10:11]
	v_fma_f64 v[18:19], v[158:159], v[120:121], v[18:19]
	v_fma_f64 v[10:11], v[160:161], v[128:129], -v[136:137]
	v_fma_f64 v[136:137], v[162:163], v[128:129], v[138:139]
	v_fma_f64 v[156:157], v[168:169], v[104:105], -v[180:181]
	v_fma_f64 v[160:161], v[172:173], v[116:117], -v[184:185]
	v_fma_f64 v[162:163], v[174:175], v[116:117], v[186:187]
	v_add_f64 v[172:173], v[144:145], v[148:149]
	v_add_f64 v[148:149], v[144:145], -v[148:149]
	v_fma_f64 v[138:139], v[164:165], v[124:125], -v[176:177]
	v_fma_f64 v[154:155], v[166:167], v[124:125], v[178:179]
	v_add_f64 v[164:165], v[0:1], v[20:21]
	v_add_f64 v[166:167], v[12:13], v[140:141]
	v_add_f64 v[0:1], v[0:1], -v[20:21]
	v_add_f64 v[140:141], v[12:13], -v[140:141]
	v_add_f64 v[174:175], v[8:9], v[16:17]
	v_add_f64 v[16:17], v[8:9], -v[16:17]
	v_add_f64 v[178:179], v[152:153], v[18:19]
	;; [unrolled: 2-line block ×3, first 2 shown]
	v_add_f64 v[180:181], v[10:11], v[138:139]
	v_add_f64 v[188:189], v[138:139], -v[10:11]
	v_add_f64 v[10:11], v[166:167], v[164:165]
	v_add_f64 v[20:21], v[174:175], v[172:173]
	;; [unrolled: 1-line block ×3, first 2 shown]
	v_fma_f64 v[146:147], v[146:147], v[25:26], v[182:183]
	v_mul_f64 v[182:183], v[168:169], v[106:107]
	v_add_f64 v[168:169], v[2:3], v[22:23]
	v_add_f64 v[2:3], v[2:3], -v[22:23]
	v_add_f64 v[22:23], v[160:161], -v[156:157]
	v_add_f64 v[156:157], v[180:181], v[10:11]
	ds_read_b128 v[8:11], v255
	v_add_f64 v[176:177], v[146:147], v[150:151]
	v_fma_f64 v[158:159], v[170:171], v[104:105], v[182:183]
	v_add_f64 v[170:171], v[14:15], v[142:143]
	v_add_f64 v[182:183], v[136:137], v[154:155]
	v_add_f64 v[142:143], v[14:15], -v[142:143]
	v_add_f64 v[154:155], v[154:155], -v[136:137]
	;; [unrolled: 1-line block ×3, first 2 shown]
	v_add_f64 v[14:15], v[178:179], v[176:177]
	v_add_f64 v[186:187], v[158:159], v[162:163]
	;; [unrolled: 1-line block ×3, first 2 shown]
	v_add_f64 v[152:153], v[162:163], -v[158:159]
	v_add_f64 v[158:159], v[188:189], v[140:141]
	v_add_f64 v[162:163], v[154:155], v[142:143]
	v_add_f64 v[190:191], v[186:187], v[14:15]
	v_add_f64 v[160:161], v[182:183], v[12:13]
	ds_read_b128 v[12:15], v255 offset:1360
	s_waitcnt lgkmcnt(1)
	v_add_f64 v[136:137], v[8:9], v[156:157]
	v_add_f64 v[8:9], v[166:167], -v[164:165]
	s_waitcnt lgkmcnt(0)
	v_add_f64 v[144:145], v[12:13], v[20:21]
	v_add_f64 v[12:13], v[22:23], v[16:17]
	;; [unrolled: 1-line block ×4, first 2 shown]
	v_add_f64 v[10:11], v[180:181], -v[166:167]
	v_add_f64 v[14:15], v[164:165], -v[180:181]
	;; [unrolled: 1-line block ×11, first 2 shown]
	v_add_f64 v[0:1], v[158:159], v[0:1]
	v_add_f64 v[158:159], v[154:155], -v[142:143]
	v_add_f64 v[142:143], v[142:143], -v[2:3]
	;; [unrolled: 1-line block ×3, first 2 shown]
	v_add_f64 v[2:3], v[162:163], v[2:3]
	v_add_f64 v[162:163], v[22:23], -v[16:17]
	v_add_f64 v[16:17], v[16:17], -v[148:149]
	;; [unrolled: 1-line block ×3, first 2 shown]
	v_add_f64 v[12:13], v[12:13], v[148:149]
	v_add_f64 v[148:149], v[152:153], v[18:19]
	v_add_f64 v[180:181], v[178:179], -v[176:177]
	v_add_f64 v[178:179], v[186:187], -v[178:179]
	;; [unrolled: 1-line block ×6, first 2 shown]
	v_mul_f64 v[14:15], v[14:15], s[22:23]
	v_mul_f64 v[158:159], v[158:159], s[2:3]
	;; [unrolled: 1-line block ×3, first 2 shown]
	v_add_f64 v[148:149], v[148:149], v[150:151]
	v_mul_f64 v[150:151], v[182:183], s[2:3]
	v_mul_f64 v[182:183], v[140:141], s[8:9]
	v_fma_f64 v[140:141], v[140:141], s[8:9], -v[150:151]
	v_fma_f64 v[182:183], v[184:185], s[16:17], -v[182:183]
	v_fma_f64 v[150:151], v[184:185], s[10:11], v[150:151]
	v_mul_f64 v[184:185], v[142:143], s[8:9]
	v_fma_f64 v[142:143], v[142:143], s[8:9], -v[158:159]
	v_fma_f64 v[184:185], v[154:155], s[16:17], -v[184:185]
	v_fma_f64 v[154:155], v[154:155], s[10:11], v[158:159]
	v_mul_f64 v[158:159], v[10:11], s[18:19]
	v_fma_f64 v[10:11], v[10:11], s[18:19], v[14:15]
	v_fma_f64 v[158:159], v[8:9], s[20:21], -v[158:159]
	v_fma_f64 v[8:9], v[8:9], s[24:25], -v[14:15]
	v_mul_f64 v[14:15], v[168:169], s[22:23]
	v_mul_f64 v[168:169], v[166:167], s[18:19]
	v_fma_f64 v[168:169], v[164:165], s[20:21], -v[168:169]
	v_fma_f64 v[164:165], v[164:165], s[24:25], -v[14:15]
	v_fma_f64 v[14:15], v[166:167], s[18:19], v[14:15]
	v_mul_f64 v[166:167], v[16:17], s[8:9]
	v_fma_f64 v[16:17], v[16:17], s[8:9], -v[162:163]
	v_fma_f64 v[166:167], v[22:23], s[16:17], -v[166:167]
	v_fma_f64 v[22:23], v[22:23], s[10:11], v[162:163]
	v_mul_f64 v[162:163], v[186:187], s[2:3]
	v_mul_f64 v[186:187], v[18:19], s[8:9]
	s_mov_b32 s2, 0xaaaaaaaa
	s_mov_b32 s3, 0xbff2aaaa
	v_fma_f64 v[156:157], v[156:157], s[2:3], v[136:137]
	v_fma_f64 v[160:161], v[160:161], s[2:3], v[138:139]
	;; [unrolled: 1-line block ×3, first 2 shown]
	v_fma_f64 v[18:19], v[18:19], s[8:9], -v[162:163]
	v_fma_f64 v[186:187], v[152:153], s[16:17], -v[186:187]
	v_fma_f64 v[152:153], v[152:153], s[10:11], v[162:163]
	v_mul_f64 v[162:163], v[172:173], s[22:23]
	v_mul_f64 v[172:173], v[174:175], s[18:19]
	v_add_f64 v[8:9], v[8:9], v[156:157]
	v_add_f64 v[14:15], v[14:15], v[160:161]
	;; [unrolled: 1-line block ×5, first 2 shown]
	v_fma_f64 v[172:173], v[170:171], s[20:21], -v[172:173]
	v_fma_f64 v[170:171], v[170:171], s[24:25], -v[162:163]
	v_fma_f64 v[162:163], v[174:175], s[18:19], v[162:163]
	v_mul_f64 v[174:175], v[176:177], s[22:23]
	v_mul_f64 v[176:177], v[178:179], s[18:19]
	v_add_f64 v[156:157], v[172:173], v[20:21]
	v_fma_f64 v[176:177], v[180:181], s[20:21], -v[176:177]
	v_fma_f64 v[180:181], v[180:181], s[24:25], -v[174:175]
	v_fma_f64 v[174:175], v[178:179], s[18:19], v[174:175]
	v_fma_f64 v[178:179], v[190:191], s[2:3], v[146:147]
	s_mov_b32 s2, 0x37c3f68c
	s_mov_b32 s3, 0x3fdc38aa
	v_fma_f64 v[140:141], v[0:1], s[2:3], v[140:141]
	v_fma_f64 v[192:193], v[0:1], s[2:3], v[182:183]
	;; [unrolled: 1-line block ×4, first 2 shown]
	v_add_f64 v[150:151], v[164:165], v[160:161]
	v_fma_f64 v[142:143], v[2:3], s[2:3], v[142:143]
	v_fma_f64 v[2:3], v[2:3], s[2:3], v[154:155]
	;; [unrolled: 1-line block ×8, first 2 shown]
	v_add_f64 v[148:149], v[170:171], v[20:21]
	v_add_f64 v[20:21], v[162:163], v[20:21]
	;; [unrolled: 1-line block ×6, first 2 shown]
	v_add_f64 v[182:183], v[168:169], -v[140:141]
	v_add_f64 v[188:189], v[194:195], v[8:9]
	v_add_f64 v[176:177], v[8:9], -v[194:195]
	v_add_f64 v[194:195], v[14:15], -v[0:1]
	v_add_f64 v[174:175], v[0:1], v[14:15]
	buffer_load_dword v0, off, s[60:63], 0 offset:4 ; 4-byte Folded Reload
	v_add_f64 v[184:185], v[158:159], -v[142:143]
	v_add_f64 v[180:181], v[142:143], v[158:159]
	v_add_f64 v[190:191], v[150:151], -v[192:193]
	v_add_f64 v[178:179], v[192:193], v[150:151]
	v_add_f64 v[192:193], v[2:3], v[10:11]
	v_add_f64 v[172:173], v[10:11], -v[2:3]
	v_add_f64 v[160:161], v[156:157], -v[18:19]
	v_add_f64 v[156:157], v[18:19], v[156:157]
	v_add_f64 v[168:169], v[22:23], v[20:21]
	v_add_f64 v[152:153], v[148:149], -v[196:197]
	v_add_f64 v[162:163], v[16:17], v[164:165]
	v_add_f64 v[158:159], v[164:165], -v[16:17]
	;; [unrolled: 2-line block ×3, first 2 shown]
	v_add_f64 v[166:167], v[200:201], -v[154:155]
	v_add_f64 v[154:155], v[154:155], v[200:201]
	v_add_f64 v[148:149], v[20:21], -v[22:23]
	v_add_f64 v[150:151], v[12:13], v[198:199]
	s_waitcnt vmcnt(0)
	v_lshl_add_u32 v14, v24, 4, v0
	ds_write_b128 v14, v[136:139]
	ds_write_b128 v14, v[144:147] offset:1360
	ds_write_b128 v14, v[192:195] offset:2720
	;; [unrolled: 1-line block ×13, first 2 shown]
	s_waitcnt lgkmcnt(0)
	s_waitcnt_vscnt null, 0x0
	s_barrier
	buffer_gl0_inv
	s_and_saveexec_b32 s2, vcc_lo
	s_cbranch_execz .LBB0_13
; %bb.12:
	v_add_co_u32 v8, s1, s12, v242
	v_add_co_ci_u32_e64 v9, null, s13, 0, s1
	v_mov_b32_e32 v24, v243
	v_add_co_u32 v0, s1, 0x4800, v8
	v_add_co_ci_u32_e64 v1, s1, 0, v9, s1
	v_mov_b32_e32 v23, v242
	v_mov_b32_e32 v25, v244
	;; [unrolled: 1-line block ×3, first 2 shown]
	global_load_dwordx4 v[10:13], v[0:1], off offset:608
	v_add_co_u32 v0, s1, 0x4a60, v8
	v_add_co_ci_u32_e64 v1, s1, 0, v9, s1
	v_mov_b32_e32 v27, v246
	global_load_dwordx4 v[198:201], v[0:1], off offset:1120
	v_add_co_u32 v0, s1, 0x5000, v8
	v_add_co_ci_u32_e64 v1, s1, 0, v9, s1
	s_clause 0x1
	global_load_dwordx4 v[202:205], v[0:1], off offset:800
	global_load_dwordx4 v[206:209], v[0:1], off offset:1920
	v_add_co_u32 v0, s1, 0x5800, v8
	v_add_co_ci_u32_e64 v1, s1, 0, v9, s1
	global_load_dwordx4 v[210:213], v[0:1], off offset:992
	v_add_co_u32 v0, s1, 0x6000, v8
	v_add_co_ci_u32_e64 v1, s1, 0, v9, s1
	s_clause 0x1
	global_load_dwordx4 v[217:220], v[0:1], off offset:64
	global_load_dwordx4 v[221:224], v[0:1], off offset:1184
	v_add_co_u32 v0, s1, 0x6800, v8
	v_add_co_ci_u32_e64 v1, s1, 0, v9, s1
	s_clause 0x1
	global_load_dwordx4 v[225:228], v[0:1], off offset:256
	global_load_dwordx4 v[229:232], v[0:1], off offset:1376
	v_add_co_u32 v0, s1, 0x7000, v8
	v_add_co_ci_u32_e64 v1, s1, 0, v9, s1
	ds_read_b128 v[140:143], v14
	ds_read_b128 v[237:240], v14 offset:1120
	ds_read_b128 v[241:244], v14 offset:2240
	;; [unrolled: 1-line block ×3, first 2 shown]
	global_load_dwordx4 v[233:236], v[0:1], off offset:448
	s_waitcnt vmcnt(9) lgkmcnt(3)
	v_mul_f64 v[2:3], v[142:143], v[12:13]
	v_mul_f64 v[12:13], v[140:141], v[12:13]
	s_waitcnt vmcnt(8) lgkmcnt(2)
	v_mul_f64 v[15:16], v[239:240], v[200:201]
	v_mul_f64 v[17:18], v[237:238], v[200:201]
	s_waitcnt vmcnt(6) lgkmcnt(0)
	v_mul_f64 v[19:20], v[245:246], v[208:209]
	v_fma_f64 v[140:141], v[140:141], v[10:11], -v[2:3]
	v_fma_f64 v[142:143], v[142:143], v[10:11], v[12:13]
	global_load_dwordx4 v[10:13], v[0:1], off offset:1568
	v_mul_f64 v[0:1], v[243:244], v[204:205]
	v_mul_f64 v[2:3], v[241:242], v[204:205]
	v_fma_f64 v[196:197], v[237:238], v[198:199], -v[15:16]
	v_add_co_u32 v15, s1, 0x7800, v8
	v_add_co_ci_u32_e64 v16, s1, 0, v9, s1
	v_fma_f64 v[198:199], v[239:240], v[198:199], v[17:18]
	v_mul_f64 v[17:18], v[247:248], v[208:209]
	ds_read_b128 v[237:240], v14 offset:4480
	v_fma_f64 v[200:201], v[241:242], v[202:203], -v[0:1]
	v_fma_f64 v[202:203], v[243:244], v[202:203], v[2:3]
	global_load_dwordx4 v[241:244], v[15:16], off offset:640
	v_fma_f64 v[204:205], v[245:246], v[206:207], -v[17:18]
	v_fma_f64 v[206:207], v[247:248], v[206:207], v[19:20]
	ds_read_b128 v[247:250], v14 offset:14560
	s_waitcnt vmcnt(7) lgkmcnt(1)
	v_mul_f64 v[0:1], v[239:240], v[212:213]
	v_mul_f64 v[2:3], v[237:238], v[212:213]
	ds_read_b128 v[212:215], v14 offset:5600
	ds_read_b128 v[19:22], v14 offset:16800
	v_fma_f64 v[208:209], v[237:238], v[210:211], -v[0:1]
	v_fma_f64 v[210:211], v[239:240], v[210:211], v[2:3]
	global_load_dwordx4 v[237:240], v[15:16], off offset:1760
	s_waitcnt vmcnt(7) lgkmcnt(1)
	v_mul_f64 v[0:1], v[214:215], v[219:220]
	v_mul_f64 v[2:3], v[212:213], v[219:220]
	v_add_co_u32 v15, s1, 0x8000, v8
	v_add_co_ci_u32_e64 v16, s1, 0, v9, s1
	v_fma_f64 v[212:213], v[212:213], v[217:218], -v[0:1]
	v_fma_f64 v[214:215], v[214:215], v[217:218], v[2:3]
	ds_read_b128 v[217:220], v14 offset:6720
	s_waitcnt vmcnt(6) lgkmcnt(0)
	v_mul_f64 v[0:1], v[219:220], v[223:224]
	v_mul_f64 v[2:3], v[217:218], v[223:224]
	v_fma_f64 v[217:218], v[217:218], v[221:222], -v[0:1]
	v_fma_f64 v[219:220], v[219:220], v[221:222], v[2:3]
	ds_read_b128 v[221:224], v14 offset:7840
	s_waitcnt vmcnt(5) lgkmcnt(0)
	v_mul_f64 v[0:1], v[223:224], v[227:228]
	v_mul_f64 v[2:3], v[221:222], v[227:228]
	;; [unrolled: 6-line block ×7, first 2 shown]
	v_fma_f64 v[239:240], v[241:242], v[237:238], -v[0:1]
	v_fma_f64 v[241:242], v[243:244], v[237:238], v[2:3]
	global_load_dwordx4 v[243:246], v[15:16], off offset:832
	s_waitcnt vmcnt(0)
	v_mul_f64 v[0:1], v[249:250], v[245:246]
	v_mul_f64 v[2:3], v[247:248], v[245:246]
	v_fma_f64 v[245:246], v[247:248], v[243:244], -v[0:1]
	v_fma_f64 v[247:248], v[249:250], v[243:244], v[2:3]
	global_load_dwordx4 v[249:252], v[15:16], off offset:1952
	ds_read_b128 v[15:18], v14 offset:15680
	s_waitcnt vmcnt(0) lgkmcnt(0)
	v_mul_f64 v[0:1], v[17:18], v[251:252]
	v_mul_f64 v[2:3], v[15:16], v[251:252]
	v_fma_f64 v[15:16], v[15:16], v[249:250], -v[0:1]
	v_add_co_u32 v0, s1, 0x8800, v8
	v_add_co_ci_u32_e64 v1, s1, 0, v9, s1
	v_fma_f64 v[17:18], v[17:18], v[249:250], v[2:3]
	global_load_dwordx4 v[249:252], v[0:1], off offset:1024
	s_waitcnt vmcnt(0)
	v_mul_f64 v[0:1], v[21:22], v[251:252]
	v_mul_f64 v[2:3], v[19:20], v[251:252]
	v_fma_f64 v[19:20], v[19:20], v[249:250], -v[0:1]
	v_add_co_u32 v0, s1, 0x9000, v8
	v_add_co_ci_u32_e64 v1, s1, 0, v9, s1
	v_fma_f64 v[21:22], v[21:22], v[249:250], v[2:3]
	global_load_dwordx4 v[249:252], v[0:1], off offset:96
	ds_read_b128 v[0:3], v14 offset:17920
	ds_write_b128 v14, v[140:143]
	ds_write_b128 v14, v[196:199] offset:1120
	ds_write_b128 v14, v[200:203] offset:2240
	;; [unrolled: 1-line block ×13, first 2 shown]
	v_mov_b32_e32 v246, v27
	v_mov_b32_e32 v242, v23
	;; [unrolled: 1-line block ×5, first 2 shown]
	s_waitcnt vmcnt(0) lgkmcnt(14)
	v_mul_f64 v[8:9], v[2:3], v[251:252]
	v_mul_f64 v[237:238], v[0:1], v[251:252]
	v_fma_f64 v[0:1], v[0:1], v[249:250], -v[8:9]
	v_fma_f64 v[2:3], v[2:3], v[249:250], v[237:238]
	ds_write_b128 v14, v[15:18] offset:15680
	ds_write_b128 v14, v[19:22] offset:16800
	;; [unrolled: 1-line block ×3, first 2 shown]
.LBB0_13:
	s_or_b32 exec_lo, exec_lo, s2
	s_waitcnt lgkmcnt(0)
	s_barrier
	buffer_gl0_inv
	s_and_saveexec_b32 s1, vcc_lo
	s_cbranch_execz .LBB0_15
; %bb.14:
	ds_read_b128 v[136:139], v14
	ds_read_b128 v[192:195], v14 offset:1120
	ds_read_b128 v[188:191], v14 offset:2240
	;; [unrolled: 1-line block ×16, first 2 shown]
.LBB0_15:
	s_or_b32 exec_lo, exec_lo, s1
	s_waitcnt lgkmcnt(0)
	v_add_f64 v[8:9], v[194:195], -v[245:246]
	v_add_f64 v[10:11], v[194:195], v[245:246]
	s_mov_b32 s22, 0x7c9e640b
	s_mov_b32 s2, 0x2b2883cd
	;; [unrolled: 1-line block ×4, first 2 shown]
	v_add_f64 v[249:250], v[192:193], v[243:244]
	v_add_f64 v[67:68], v[190:191], -v[6:7]
	v_add_f64 v[12:13], v[192:193], -v[243:244]
	v_add_f64 v[198:199], v[190:191], v[6:7]
	s_mov_b32 s10, 0x6c9a05f6
	s_mov_b32 s8, 0x6ed5f1bb
	s_mov_b32 s11, 0xbfe9895b
	s_mov_b32 s9, 0xbfe348c8
	v_add_f64 v[196:197], v[188:189], v[4:5]
	v_add_f64 v[69:70], v[186:187], -v[134:135]
	v_add_f64 v[233:234], v[188:189], -v[4:5]
	v_add_f64 v[202:203], v[186:187], v[134:135]
	s_mov_b32 s16, 0x7faef3
	s_mov_b32 s19, 0x3fc7851a
	;; [unrolled: 1-line block ×4, first 2 shown]
	v_mul_f64 v[35:36], v[8:9], s[22:23]
	v_mul_f64 v[37:38], v[10:11], s[2:3]
	v_add_f64 v[200:201], v[184:185], v[132:133]
	v_add_f64 v[71:72], v[182:183], -v[150:151]
	v_add_f64 v[237:238], v[184:185], -v[132:133]
	v_add_f64 v[206:207], v[182:183], v[150:151]
	s_mov_b32 s36, 0x923c349f
	v_mul_f64 v[47:48], v[67:68], s[10:11]
	s_mov_b32 s24, 0xc61f0d01
	v_mul_f64 v[43:44], v[198:199], s[8:9]
	s_mov_b32 s37, 0x3feec746
	s_mov_b32 s25, 0xbfd183b1
	v_mov_b32_e32 v21, v243
	v_add_f64 v[204:205], v[180:181], v[148:149]
	v_mov_b32_e32 v22, v244
	v_mul_f64 v[49:50], v[69:70], s[18:19]
	v_mov_b32_e32 v23, v245
	v_mul_f64 v[53:54], v[202:203], s[16:17]
	v_mov_b32_e32 v24, v246
	v_add_f64 v[243:244], v[180:181], -v[148:149]
	v_add_f64 v[247:248], v[178:179], -v[154:155]
	s_mov_b32 s26, 0x2a9d6da3
	v_fma_f64 v[0:1], v[249:250], s[2:3], -v[35:36]
	v_fma_f64 v[2:3], v[12:13], s[22:23], v[37:38]
	s_mov_b32 s27, 0x3fe58eea
	v_mul_f64 v[51:52], v[71:72], s[36:37]
	v_add_f64 v[208:209], v[176:177], v[152:153]
	v_mul_f64 v[55:56], v[206:207], s[24:25]
	v_add_f64 v[217:218], v[178:179], v[154:155]
	v_fma_f64 v[15:16], v[196:197], s[8:9], -v[47:48]
	s_mov_b32 s20, 0x75d4884
	v_fma_f64 v[17:18], v[233:234], s[10:11], v[43:44]
	s_mov_b32 s21, 0x3fe7a5f6
	v_add_f64 v[251:252], v[176:177], -v[152:153]
	v_add_f64 v[253:254], v[174:175], -v[158:159]
	s_mov_b32 s38, 0x5d8e7cdc
	s_mov_b32 s39, 0xbfd71e95
	v_fma_f64 v[19:20], v[200:201], s[16:17], -v[49:50]
	v_add_f64 v[210:211], v[172:173], v[156:157]
	v_add_f64 v[223:224], v[174:175], v[158:159]
	s_mov_b32 s28, 0x370991
	s_mov_b32 s29, 0x3fedd6d0
	v_mul_f64 v[57:58], v[247:248], s[26:27]
	v_add_f64 v[239:240], v[172:173], -v[156:157]
	v_add_f64 v[0:1], v[136:137], v[0:1]
	v_add_f64 v[2:3], v[138:139], v[2:3]
	v_add_f64 v[229:230], v[146:147], -v[162:163]
	s_mov_b32 s42, 0xeb564b22
	s_mov_b32 s43, 0xbfefdd0d
	v_add_f64 v[219:220], v[144:145], v[160:161]
	v_mul_f64 v[61:62], v[217:218], s[20:21]
	v_add_f64 v[221:222], v[146:147], v[162:163]
	s_mov_b32 s34, 0x3259b75e
	s_mov_b32 s35, 0x3fb79ee6
	v_add_f64 v[245:246], v[144:145], -v[160:161]
	s_mov_b32 s40, 0x4363dd80
	v_mul_f64 v[59:60], v[253:254], s[38:39]
	s_mov_b32 s41, 0xbfe0d888
	v_add_f64 v[212:213], v[168:169], v[164:165]
	v_add_f64 v[214:215], v[170:171], v[166:167]
	s_mov_b32 s30, 0x910ea3b9
	v_mul_f64 v[65:66], v[223:224], s[28:29]
	s_mov_b32 s31, 0xbfeb34fa
	v_add_f64 v[33:34], v[168:169], -v[164:165]
	s_barrier
	v_add_f64 v[0:1], v[15:16], v[0:1]
	v_add_f64 v[2:3], v[17:18], v[2:3]
	v_fma_f64 v[15:16], v[237:238], s[18:19], v[53:54]
	v_fma_f64 v[17:18], v[204:205], s[24:25], -v[51:52]
	v_mul_f64 v[63:64], v[229:230], s[42:43]
	buffer_gl0_inv
	v_mul_f64 v[86:87], v[221:222], s[34:35]
	v_mul_f64 v[235:236], v[214:215], s[30:31]
	v_add_f64 v[0:1], v[19:20], v[0:1]
	v_add_f64 v[19:20], v[170:171], -v[166:167]
	v_add_f64 v[2:3], v[15:16], v[2:3]
	v_fma_f64 v[15:16], v[243:244], s[36:37], v[55:56]
	v_add_f64 v[0:1], v[17:18], v[0:1]
	v_mul_f64 v[84:85], v[19:20], s[40:41]
	v_add_f64 v[2:3], v[15:16], v[2:3]
	v_fma_f64 v[15:16], v[208:209], s[20:21], -v[57:58]
	v_add_f64 v[0:1], v[15:16], v[0:1]
	v_fma_f64 v[15:16], v[251:252], s[26:27], v[61:62]
	v_add_f64 v[2:3], v[15:16], v[2:3]
	v_fma_f64 v[15:16], v[210:211], s[28:29], -v[59:60]
	v_add_f64 v[0:1], v[15:16], v[0:1]
	v_fma_f64 v[15:16], v[239:240], s[38:39], v[65:66]
	;; [unrolled: 4-line block ×4, first 2 shown]
	v_add_f64 v[142:143], v[0:1], v[2:3]
	s_and_saveexec_b32 s1, vcc_lo
	s_cbranch_execz .LBB0_17
; %bb.16:
	v_add_f64 v[0:1], v[138:139], v[194:195]
	v_add_f64 v[2:3], v[136:137], v[192:193]
	s_mov_b32 s51, 0xbfeec746
	s_mov_b32 s50, s36
	;; [unrolled: 1-line block ×4, first 2 shown]
	v_mul_f64 v[17:18], v[12:13], s[40:41]
	v_mul_f64 v[15:16], v[249:250], s[2:3]
	s_mov_b32 s53, 0x3feca52d
	s_mov_b32 s52, s22
	;; [unrolled: 1-line block ×8, first 2 shown]
	v_mul_f64 v[231:232], v[69:70], s[40:41]
	v_mul_f64 v[27:28], v[251:252], s[10:11]
	;; [unrolled: 1-line block ×3, first 2 shown]
	v_add_f64 v[0:1], v[0:1], v[190:191]
	v_add_f64 v[2:3], v[2:3], v[188:189]
	v_mul_f64 v[190:191], v[237:238], s[18:19]
	s_mov_b32 s19, 0xbfc7851a
	v_mul_f64 v[225:226], v[245:246], s[18:19]
	v_mul_f64 v[227:228], v[229:230], s[18:19]
	v_add_f64 v[15:16], v[15:16], v[35:36]
	v_mul_f64 v[35:36], v[245:246], s[50:51]
	v_fma_f64 v[29:30], v[217:218], s[8:9], v[27:28]
	v_add_f64 v[0:1], v[0:1], v[186:187]
	v_add_f64 v[2:3], v[2:3], v[184:185]
	v_add_f64 v[194:195], v[136:137], v[15:16]
	v_add_f64 v[0:1], v[0:1], v[182:183]
	v_add_f64 v[2:3], v[2:3], v[180:181]
	v_add_f64 v[0:1], v[0:1], v[178:179]
	v_add_f64 v[2:3], v[2:3], v[176:177]
	v_add_f64 v[0:1], v[0:1], v[174:175]
	v_add_f64 v[2:3], v[2:3], v[172:173]
	v_add_f64 v[0:1], v[0:1], v[146:147]
	v_add_f64 v[2:3], v[2:3], v[144:145]
	v_mul_f64 v[144:145], v[12:13], s[50:51]
	v_fma_f64 v[146:147], v[10:11], s[30:31], v[17:18]
	v_fma_f64 v[17:18], v[10:11], s[30:31], -v[17:18]
	v_add_f64 v[0:1], v[0:1], v[170:171]
	v_add_f64 v[2:3], v[2:3], v[168:169]
	v_mul_f64 v[168:169], v[8:9], s[50:51]
	v_add_f64 v[146:147], v[138:139], v[146:147]
	v_add_f64 v[17:18], v[138:139], v[17:18]
	;; [unrolled: 1-line block ×4, first 2 shown]
	v_mul_f64 v[164:165], v[8:9], s[38:39]
	v_fma_f64 v[180:181], v[249:250], s[24:25], -v[168:169]
	v_fma_f64 v[168:169], v[249:250], s[24:25], v[168:169]
	v_mul_f64 v[166:167], v[8:9], s[18:19]
	v_add_f64 v[0:1], v[0:1], v[162:163]
	v_add_f64 v[2:3], v[2:3], v[160:161]
	v_mul_f64 v[160:161], v[8:9], s[10:11]
	v_mul_f64 v[162:163], v[8:9], s[42:43]
	v_fma_f64 v[176:177], v[249:250], s[28:29], v[164:165]
	v_fma_f64 v[164:165], v[249:250], s[28:29], -v[164:165]
	v_fma_f64 v[178:179], v[249:250], s[16:17], -v[166:167]
	v_fma_f64 v[166:167], v[249:250], s[16:17], v[166:167]
	v_add_f64 v[0:1], v[0:1], v[158:159]
	v_add_f64 v[2:3], v[2:3], v[156:157]
	v_fma_f64 v[172:173], v[249:250], s[8:9], -v[160:161]
	v_fma_f64 v[160:161], v[249:250], s[8:9], v[160:161]
	v_fma_f64 v[174:175], v[249:250], s[34:35], -v[162:163]
	v_fma_f64 v[162:163], v[249:250], s[34:35], v[162:163]
	v_fma_f64 v[156:157], v[10:11], s[24:25], v[144:145]
	v_fma_f64 v[144:145], v[10:11], s[24:25], -v[144:145]
	v_add_f64 v[176:177], v[136:137], v[176:177]
	v_add_f64 v[166:167], v[136:137], v[166:167]
	;; [unrolled: 1-line block ×9, first 2 shown]
	v_mul_f64 v[132:133], v[12:13], s[38:39]
	v_mul_f64 v[134:135], v[12:13], s[18:19]
	v_add_f64 v[0:1], v[0:1], v[6:7]
	v_add_f64 v[4:5], v[2:3], v[4:5]
	v_fma_f64 v[152:153], v[10:11], s[28:29], -v[132:133]
	v_fma_f64 v[132:133], v[10:11], s[28:29], v[132:133]
	v_mul_f64 v[6:7], v[12:13], s[22:23]
	v_fma_f64 v[154:155], v[10:11], s[16:17], v[134:135]
	v_fma_f64 v[134:135], v[10:11], s[16:17], -v[134:135]
	v_add_f64 v[2:3], v[0:1], v[23:24]
	v_add_f64 v[0:1], v[4:5], v[21:22]
	v_mul_f64 v[4:5], v[12:13], s[10:11]
	v_mul_f64 v[21:22], v[12:13], s[42:43]
	;; [unrolled: 1-line block ×3, first 2 shown]
	v_add_f64 v[6:7], v[37:38], -v[6:7]
	v_add_f64 v[15:16], v[138:139], v[154:155]
	v_add_f64 v[154:155], v[136:137], v[178:179]
	;; [unrolled: 1-line block ×3, first 2 shown]
	v_mul_f64 v[23:24], v[243:244], s[26:27]
	v_fma_f64 v[37:38], v[221:222], s[24:25], v[35:36]
	buffer_store_dword v0, off, s[60:63], 0 offset:332 ; 4-byte Folded Spill
	buffer_store_dword v1, off, s[60:63], 0 offset:336 ; 4-byte Folded Spill
	;; [unrolled: 1-line block ×4, first 2 shown]
	v_fma_f64 v[148:149], v[10:11], s[8:9], v[4:5]
	v_fma_f64 v[4:5], v[10:11], s[8:9], -v[4:5]
	v_fma_f64 v[150:151], v[10:11], s[34:35], -v[21:22]
	v_fma_f64 v[21:22], v[10:11], s[34:35], v[21:22]
	v_fma_f64 v[158:159], v[10:11], s[20:21], -v[12:13]
	v_fma_f64 v[12:13], v[10:11], s[20:21], v[12:13]
	v_mul_f64 v[10:11], v[8:9], s[40:41]
	v_mul_f64 v[8:9], v[8:9], s[54:55]
	v_add_f64 v[192:193], v[138:139], v[6:7]
	v_fma_f64 v[25:26], v[206:207], s[20:21], v[23:24]
	v_fma_f64 v[23:24], v[206:207], s[20:21], -v[23:24]
	v_add_f64 v[188:189], v[138:139], v[148:149]
	v_add_f64 v[0:1], v[138:139], v[4:5]
	;; [unrolled: 1-line block ×3, first 2 shown]
	buffer_store_dword v0, off, s[60:63], 0 offset:436 ; 4-byte Folded Spill
	buffer_store_dword v1, off, s[60:63], 0 offset:440 ; 4-byte Folded Spill
	v_add_f64 v[0:1], v[136:137], v[160:161]
	v_fma_f64 v[170:171], v[249:250], s[30:31], -v[10:11]
	v_fma_f64 v[10:11], v[249:250], s[30:31], v[10:11]
	v_fma_f64 v[182:183], v[249:250], s[20:21], v[8:9]
	v_fma_f64 v[184:185], v[249:250], s[20:21], -v[8:9]
	v_add_f64 v[158:159], v[138:139], v[158:159]
	buffer_store_dword v0, off, s[60:63], 0 offset:428 ; 4-byte Folded Spill
	buffer_store_dword v1, off, s[60:63], 0 offset:432 ; 4-byte Folded Spill
	v_add_f64 v[0:1], v[138:139], v[21:22]
	v_add_f64 v[170:171], v[136:137], v[170:171]
	;; [unrolled: 1-line block ×4, first 2 shown]
	buffer_store_dword v0, off, s[60:63], 0 offset:388 ; 4-byte Folded Spill
	buffer_store_dword v1, off, s[60:63], 0 offset:392 ; 4-byte Folded Spill
	v_add_f64 v[0:1], v[136:137], v[174:175]
	buffer_store_dword v0, off, s[60:63], 0 offset:380 ; 4-byte Folded Spill
	buffer_store_dword v1, off, s[60:63], 0 offset:384 ; 4-byte Folded Spill
	v_add_f64 v[0:1], v[136:137], v[162:163]
	;; [unrolled: 3-line block ×3, first 2 shown]
	v_mul_f64 v[132:133], v[233:234], s[52:53]
	buffer_store_dword v0, off, s[60:63], 0 offset:356 ; 4-byte Folded Spill
	buffer_store_dword v1, off, s[60:63], 0 offset:360 ; 4-byte Folded Spill
	v_add_f64 v[0:1], v[136:137], v[164:165]
	v_fma_f64 v[4:5], v[198:199], s[2:3], v[132:133]
	v_add_f64 v[164:165], v[138:139], v[134:135]
	v_mul_f64 v[134:135], v[67:68], s[52:53]
	v_fma_f64 v[132:133], v[198:199], s[2:3], -v[132:133]
	buffer_store_dword v0, off, s[60:63], 0 offset:348 ; 4-byte Folded Spill
	buffer_store_dword v1, off, s[60:63], 0 offset:352 ; 4-byte Folded Spill
	v_add_f64 v[0:1], v[138:139], v[156:157]
	v_add_f64 v[4:5], v[4:5], v[146:147]
	v_fma_f64 v[6:7], v[196:197], s[2:3], -v[134:135]
	v_add_f64 v[17:18], v[132:133], v[17:18]
	v_fma_f64 v[132:133], v[196:197], s[2:3], v[134:135]
	buffer_store_dword v0, off, s[60:63], 0 offset:420 ; 4-byte Folded Spill
	buffer_store_dword v1, off, s[60:63], 0 offset:424 ; 4-byte Folded Spill
	v_add_f64 v[0:1], v[136:137], v[180:181]
	v_add_f64 v[6:7], v[6:7], v[170:171]
	buffer_store_dword v0, off, s[60:63], 0 offset:412 ; 4-byte Folded Spill
	buffer_store_dword v1, off, s[60:63], 0 offset:416 ; 4-byte Folded Spill
	v_add_f64 v[0:1], v[138:139], v[144:145]
	v_add_f64 v[132:133], v[132:133], v[186:187]
	v_mul_f64 v[186:187], v[247:248], s[48:49]
	buffer_store_dword v0, off, s[60:63], 0 offset:468 ; 4-byte Folded Spill
	buffer_store_dword v1, off, s[60:63], 0 offset:472 ; 4-byte Folded Spill
	v_add_f64 v[0:1], v[136:137], v[168:169]
	buffer_store_dword v0, off, s[60:63], 0 offset:460 ; 4-byte Folded Spill
	buffer_store_dword v1, off, s[60:63], 0 offset:464 ; 4-byte Folded Spill
	v_add_f64 v[0:1], v[138:139], v[12:13]
	;; [unrolled: 3-line block ×3, first 2 shown]
	v_mul_f64 v[136:137], v[237:238], s[42:43]
	buffer_store_dword v0, off, s[60:63], 0 offset:372 ; 4-byte Folded Spill
	buffer_store_dword v1, off, s[60:63], 0 offset:376 ; 4-byte Folded Spill
	v_fma_f64 v[138:139], v[202:203], s[34:35], v[136:137]
	v_fma_f64 v[134:135], v[202:203], s[34:35], -v[136:137]
	v_mul_f64 v[0:1], v[33:34], s[50:51]
	v_add_f64 v[4:5], v[138:139], v[4:5]
	v_mul_f64 v[138:139], v[69:70], s[42:43]
	v_add_f64 v[17:18], v[134:135], v[17:18]
	v_fma_f64 v[2:3], v[214:215], s[24:25], v[0:1]
	v_fma_f64 v[0:1], v[214:215], s[24:25], -v[0:1]
	v_fma_f64 v[144:145], v[200:201], s[34:35], -v[138:139]
	v_fma_f64 v[134:135], v[200:201], s[34:35], v[138:139]
	v_add_f64 v[6:7], v[144:145], v[6:7]
	v_mul_f64 v[144:145], v[243:244], s[46:47]
	v_add_f64 v[132:133], v[134:135], v[132:133]
	v_fma_f64 v[146:147], v[206:207], s[8:9], v[144:145]
	v_fma_f64 v[134:135], v[206:207], s[8:9], -v[144:145]
	v_add_f64 v[4:5], v[146:147], v[4:5]
	v_mul_f64 v[146:147], v[71:72], s[46:47]
	v_add_f64 v[17:18], v[134:135], v[17:18]
	v_fma_f64 v[170:171], v[204:205], s[8:9], -v[146:147]
	v_fma_f64 v[134:135], v[204:205], s[8:9], v[146:147]
	v_add_f64 v[6:7], v[170:171], v[6:7]
	v_mul_f64 v[170:171], v[251:252], s[38:39]
	v_add_f64 v[132:133], v[134:135], v[132:133]
	v_fma_f64 v[184:185], v[217:218], s[28:29], v[170:171]
	v_fma_f64 v[134:135], v[217:218], s[28:29], -v[170:171]
	v_mul_f64 v[170:171], v[243:244], s[40:41]
	v_add_f64 v[4:5], v[184:185], v[4:5]
	v_mul_f64 v[184:185], v[247:248], s[38:39]
	v_add_f64 v[17:18], v[134:135], v[17:18]
	v_fma_f64 v[249:250], v[208:209], s[28:29], -v[184:185]
	v_fma_f64 v[134:135], v[208:209], s[28:29], v[184:185]
	v_mul_f64 v[184:185], v[251:252], s[48:49]
	v_add_f64 v[6:7], v[249:250], v[6:7]
	v_mul_f64 v[249:250], v[239:240], s[18:19]
	v_add_f64 v[132:133], v[134:135], v[132:133]
	v_fma_f64 v[8:9], v[223:224], s[16:17], v[249:250]
	v_fma_f64 v[134:135], v[223:224], s[16:17], -v[249:250]
	v_mul_f64 v[249:250], v[253:254], s[54:55]
	v_add_f64 v[4:5], v[8:9], v[4:5]
	v_mul_f64 v[8:9], v[253:254], s[18:19]
	v_add_f64 v[17:18], v[134:135], v[17:18]
	v_fma_f64 v[10:11], v[210:211], s[16:17], -v[8:9]
	v_fma_f64 v[8:9], v[210:211], s[16:17], v[8:9]
	v_add_f64 v[6:7], v[10:11], v[6:7]
	v_mul_f64 v[10:11], v[245:246], s[26:27]
	v_add_f64 v[8:9], v[8:9], v[132:133]
	v_fma_f64 v[12:13], v[221:222], s[20:21], v[10:11]
	v_fma_f64 v[10:11], v[221:222], s[20:21], -v[10:11]
	v_add_f64 v[4:5], v[12:13], v[4:5]
	v_mul_f64 v[12:13], v[229:230], s[26:27]
	v_add_f64 v[10:11], v[10:11], v[17:18]
	v_fma_f64 v[148:149], v[219:220], s[20:21], -v[12:13]
	v_fma_f64 v[12:13], v[219:220], s[20:21], v[12:13]
	v_add_f64 v[134:135], v[0:1], v[10:11]
	v_mul_f64 v[0:1], v[233:234], s[36:37]
	v_add_f64 v[148:149], v[148:149], v[6:7]
	v_add_f64 v[6:7], v[2:3], v[4:5]
	v_mul_f64 v[2:3], v[19:20], s[50:51]
	v_add_f64 v[8:9], v[12:13], v[8:9]
	v_mul_f64 v[12:13], v[237:238], s[38:39]
	v_fma_f64 v[4:5], v[212:213], s[24:25], -v[2:3]
	v_fma_f64 v[2:3], v[212:213], s[24:25], v[2:3]
	v_fma_f64 v[17:18], v[202:203], s[28:29], v[12:13]
	v_fma_f64 v[12:13], v[202:203], s[28:29], -v[12:13]
	v_add_f64 v[4:5], v[4:5], v[148:149]
	v_add_f64 v[132:133], v[2:3], v[8:9]
	v_fma_f64 v[2:3], v[198:199], s[24:25], v[0:1]
	v_mul_f64 v[8:9], v[67:68], s[36:37]
	v_mul_f64 v[148:149], v[69:70], s[38:39]
	v_fma_f64 v[0:1], v[198:199], s[24:25], -v[0:1]
	v_add_f64 v[2:3], v[2:3], v[188:189]
	v_fma_f64 v[10:11], v[196:197], s[24:25], -v[8:9]
	v_mul_f64 v[188:189], v[239:240], s[54:55]
	v_fma_f64 v[8:9], v[196:197], s[24:25], v[8:9]
	v_add_f64 v[2:3], v[17:18], v[2:3]
	v_add_f64 v[10:11], v[10:11], v[172:173]
	v_fma_f64 v[17:18], v[200:201], s[28:29], -v[148:149]
	v_mul_f64 v[172:173], v[71:72], s[40:41]
	v_add_f64 v[10:11], v[17:18], v[10:11]
	v_fma_f64 v[17:18], v[206:207], s[30:31], v[170:171]
	v_add_f64 v[2:3], v[17:18], v[2:3]
	v_fma_f64 v[17:18], v[204:205], s[30:31], -v[172:173]
	v_add_f64 v[10:11], v[17:18], v[10:11]
	v_fma_f64 v[17:18], v[217:218], s[34:35], v[184:185]
	v_add_f64 v[2:3], v[17:18], v[2:3]
	v_fma_f64 v[17:18], v[208:209], s[34:35], -v[186:187]
	;; [unrolled: 4-line block ×4, first 2 shown]
	v_add_f64 v[10:11], v[17:18], v[10:11]
	v_mul_f64 v[17:18], v[33:34], s[52:53]
	buffer_store_dword v17, off, s[60:63], 0 offset:396 ; 4-byte Folded Spill
	buffer_store_dword v18, off, s[60:63], 0 offset:400 ; 4-byte Folded Spill
	v_fma_f64 v[17:18], v[214:215], s[2:3], v[17:18]
	v_add_f64 v[138:139], v[17:18], v[2:3]
	v_mul_f64 v[2:3], v[19:20], s[52:53]
	buffer_store_dword v2, off, s[60:63], 0 offset:404 ; 4-byte Folded Spill
	buffer_store_dword v3, off, s[60:63], 0 offset:408 ; 4-byte Folded Spill
	v_fma_f64 v[17:18], v[212:213], s[2:3], -v[2:3]
	v_mov_b32_e32 v2, v33
	v_mov_b32_e32 v3, v34
	v_fma_f64 v[33:34], v[223:224], s[2:3], v[31:32]
	v_mul_f64 v[39:40], v[2:3], s[48:49]
	v_add_f64 v[136:137], v[17:18], v[10:11]
	v_mul_f64 v[10:11], v[233:234], s[44:45]
	v_fma_f64 v[41:42], v[214:215], s[34:35], v[39:40]
	v_fma_f64 v[17:18], v[198:199], s[28:29], v[10:11]
	v_fma_f64 v[10:11], v[198:199], s[28:29], -v[10:11]
	v_add_f64 v[15:16], v[17:18], v[15:16]
	v_mul_f64 v[17:18], v[67:68], s[44:45]
	v_add_f64 v[10:11], v[10:11], v[164:165]
	v_fma_f64 v[144:145], v[196:197], s[28:29], -v[17:18]
	v_fma_f64 v[17:18], v[196:197], s[28:29], v[17:18]
	v_add_f64 v[144:145], v[144:145], v[154:155]
	v_mul_f64 v[154:155], v[237:238], s[40:41]
	v_add_f64 v[17:18], v[17:18], v[166:167]
	v_fma_f64 v[146:147], v[202:203], s[30:31], v[154:155]
	v_add_f64 v[15:16], v[146:147], v[15:16]
	v_fma_f64 v[146:147], v[200:201], s[30:31], -v[231:232]
	v_add_f64 v[15:16], v[25:26], v[15:16]
	v_mul_f64 v[25:26], v[71:72], s[26:27]
	v_add_f64 v[144:145], v[146:147], v[144:145]
	v_add_f64 v[15:16], v[29:30], v[15:16]
	v_fma_f64 v[146:147], v[204:205], s[20:21], -v[25:26]
	v_mul_f64 v[29:30], v[247:248], s[10:11]
	v_add_f64 v[15:16], v[33:34], v[15:16]
	v_add_f64 v[144:145], v[146:147], v[144:145]
	v_fma_f64 v[146:147], v[208:209], s[8:9], -v[29:30]
	v_mul_f64 v[33:34], v[253:254], s[52:53]
	v_add_f64 v[15:16], v[37:38], v[15:16]
	v_mul_f64 v[37:38], v[229:230], s[50:51]
	v_add_f64 v[144:145], v[146:147], v[144:145]
	v_fma_f64 v[146:147], v[210:211], s[2:3], -v[33:34]
	v_add_f64 v[144:145], v[146:147], v[144:145]
	v_fma_f64 v[146:147], v[219:220], s[24:25], -v[37:38]
	v_add_f64 v[144:145], v[146:147], v[144:145]
	v_add_f64 v[146:147], v[41:42], v[15:16]
	v_mul_f64 v[15:16], v[19:20], s[48:49]
	v_fma_f64 v[41:42], v[212:213], s[34:35], -v[15:16]
	v_fma_f64 v[15:16], v[212:213], s[34:35], v[15:16]
	v_add_f64 v[144:145], v[41:42], v[144:145]
	v_fma_f64 v[41:42], v[202:203], s[30:31], -v[154:155]
	v_add_f64 v[10:11], v[41:42], v[10:11]
	v_fma_f64 v[41:42], v[200:201], s[30:31], v[231:232]
	v_add_f64 v[10:11], v[23:24], v[10:11]
	v_add_f64 v[17:18], v[41:42], v[17:18]
	v_fma_f64 v[23:24], v[204:205], s[20:21], v[25:26]
	v_mul_f64 v[25:26], v[67:68], s[54:55]
	v_add_f64 v[17:18], v[23:24], v[17:18]
	v_fma_f64 v[23:24], v[217:218], s[8:9], -v[27:28]
	v_fma_f64 v[27:28], v[196:197], s[20:21], v[25:26]
	v_fma_f64 v[25:26], v[196:197], s[20:21], -v[25:26]
	v_add_f64 v[10:11], v[23:24], v[10:11]
	v_fma_f64 v[23:24], v[208:209], s[8:9], v[29:30]
	v_mul_f64 v[29:30], v[237:238], s[22:23]
	v_add_f64 v[27:28], v[27:28], v[176:177]
	v_add_f64 v[17:18], v[23:24], v[17:18]
	v_fma_f64 v[23:24], v[223:224], s[2:3], -v[31:32]
	v_fma_f64 v[31:32], v[202:203], s[2:3], -v[29:30]
	v_fma_f64 v[29:30], v[202:203], s[2:3], v[29:30]
	v_add_f64 v[10:11], v[23:24], v[10:11]
	v_fma_f64 v[23:24], v[210:211], s[2:3], v[33:34]
	v_add_f64 v[17:18], v[23:24], v[17:18]
	v_fma_f64 v[23:24], v[221:222], s[24:25], -v[35:36]
	v_add_f64 v[10:11], v[23:24], v[10:11]
	v_fma_f64 v[23:24], v[219:220], s[24:25], v[37:38]
	v_add_f64 v[23:24], v[23:24], v[17:18]
	v_fma_f64 v[17:18], v[214:215], s[34:35], -v[39:40]
	v_add_f64 v[15:16], v[15:16], v[23:24]
	v_add_f64 v[17:18], v[17:18], v[10:11]
	v_mul_f64 v[10:11], v[233:234], s[54:55]
	v_fma_f64 v[23:24], v[198:199], s[20:21], -v[10:11]
	v_fma_f64 v[10:11], v[198:199], s[20:21], v[10:11]
	v_add_f64 v[23:24], v[23:24], v[152:153]
	v_add_f64 v[23:24], v[31:32], v[23:24]
	v_mul_f64 v[31:32], v[69:70], s[22:23]
	v_fma_f64 v[33:34], v[200:201], s[2:3], v[31:32]
	v_fma_f64 v[31:32], v[200:201], s[2:3], -v[31:32]
	v_add_f64 v[27:28], v[33:34], v[27:28]
	v_mul_f64 v[33:34], v[243:244], s[42:43]
	v_fma_f64 v[35:36], v[206:207], s[34:35], -v[33:34]
	v_fma_f64 v[33:34], v[206:207], s[34:35], v[33:34]
	v_add_f64 v[23:24], v[35:36], v[23:24]
	v_mul_f64 v[35:36], v[71:72], s[42:43]
	v_fma_f64 v[37:38], v[204:205], s[34:35], v[35:36]
	v_fma_f64 v[35:36], v[204:205], s[34:35], -v[35:36]
	v_add_f64 v[27:28], v[37:38], v[27:28]
	v_mul_f64 v[37:38], v[251:252], s[50:51]
	v_fma_f64 v[39:40], v[217:218], s[24:25], -v[37:38]
	v_fma_f64 v[37:38], v[217:218], s[24:25], v[37:38]
	v_add_f64 v[23:24], v[39:40], v[23:24]
	v_mul_f64 v[39:40], v[247:248], s[50:51]
	s_mov_b32 s51, 0x3fe0d888
	s_mov_b32 s50, s40
	v_fma_f64 v[41:42], v[208:209], s[24:25], v[39:40]
	v_fma_f64 v[39:40], v[208:209], s[24:25], -v[39:40]
	v_add_f64 v[27:28], v[41:42], v[27:28]
	v_mul_f64 v[41:42], v[239:240], s[10:11]
	v_fma_f64 v[152:153], v[223:224], s[8:9], -v[41:42]
	v_fma_f64 v[41:42], v[223:224], s[8:9], v[41:42]
	v_add_f64 v[23:24], v[152:153], v[23:24]
	v_mul_f64 v[152:153], v[253:254], s[10:11]
	v_fma_f64 v[154:155], v[210:211], s[8:9], v[152:153]
	v_add_f64 v[27:28], v[154:155], v[27:28]
	v_mul_f64 v[154:155], v[245:246], s[40:41]
	v_fma_f64 v[164:165], v[221:222], s[30:31], -v[154:155]
	v_add_f64 v[21:22], v[164:165], v[23:24]
	v_mul_f64 v[164:165], v[229:230], s[40:41]
	buffer_store_dword v21, off, s[60:63], 0 offset:444 ; 4-byte Folded Spill
	buffer_store_dword v22, off, s[60:63], 0 offset:448 ; 4-byte Folded Spill
	v_fma_f64 v[166:167], v[219:220], s[30:31], v[164:165]
	v_add_f64 v[21:22], v[166:167], v[27:28]
	v_mul_f64 v[166:167], v[233:234], s[42:43]
	buffer_store_dword v21, off, s[60:63], 0 offset:452 ; 4-byte Folded Spill
	buffer_store_dword v22, off, s[60:63], 0 offset:456 ; 4-byte Folded Spill
	v_fma_f64 v[176:177], v[198:199], s[34:35], -v[166:167]
	v_add_f64 v[158:159], v[176:177], v[158:159]
	v_mul_f64 v[176:177], v[67:68], s[42:43]
	v_fma_f64 v[231:232], v[196:197], s[34:35], v[176:177]
	v_add_f64 v[182:183], v[231:232], v[182:183]
	v_mul_f64 v[231:232], v[237:238], s[10:11]
	v_fma_f64 v[174:175], v[202:203], s[8:9], -v[231:232]
	v_add_f64 v[158:159], v[174:175], v[158:159]
	v_mul_f64 v[174:175], v[69:70], s[10:11]
	v_fma_f64 v[21:22], v[200:201], s[8:9], v[174:175]
	v_add_f64 v[21:22], v[21:22], v[182:183]
	v_mul_f64 v[182:183], v[243:244], s[18:19]
	;; [unrolled: 6-line block ×4, first 2 shown]
	v_fma_f64 v[27:28], v[223:224], s[24:25], -v[23:24]
	v_fma_f64 v[23:24], v[223:224], s[24:25], v[23:24]
	v_add_f64 v[27:28], v[27:28], v[158:159]
	v_mul_f64 v[158:159], v[253:254], s[36:37]
	v_fma_f64 v[168:169], v[210:211], s[24:25], v[158:159]
	v_add_f64 v[21:22], v[168:169], v[21:22]
	v_mul_f64 v[168:169], v[245:246], s[52:53]
	v_fma_f64 v[180:181], v[221:222], s[2:3], -v[168:169]
	v_add_f64 v[27:28], v[180:181], v[27:28]
	v_mul_f64 v[180:181], v[233:234], s[10:11]
	buffer_store_dword v27, off, s[60:63], 0 offset:484 ; 4-byte Folded Spill
	buffer_store_dword v28, off, s[60:63], 0 offset:488 ; 4-byte Folded Spill
	v_add_f64 v[180:181], v[43:44], -v[180:181]
	v_mul_f64 v[43:44], v[229:230], s[52:53]
	v_add_f64 v[180:181], v[180:181], v[192:193]
	v_fma_f64 v[45:46], v[219:220], s[2:3], v[43:44]
	v_mul_f64 v[192:193], v[243:244], s[36:37]
	v_fma_f64 v[43:44], v[219:220], s[2:3], -v[43:44]
	v_add_f64 v[21:22], v[45:46], v[21:22]
	buffer_store_dword v21, off, s[60:63], 0 offset:492 ; 4-byte Folded Spill
	buffer_store_dword v22, off, s[60:63], 0 offset:496 ; 4-byte Folded Spill
	s_clause 0x1
	buffer_load_dword v27, off, s[60:63], 0 offset:476
	buffer_load_dword v28, off, s[60:63], 0 offset:480
	v_add_f64 v[21:22], v[53:54], -v[190:191]
	v_mul_f64 v[190:191], v[196:197], s[8:9]
	v_add_f64 v[192:193], v[55:56], -v[192:193]
	v_add_f64 v[21:22], v[21:22], v[180:181]
	v_add_f64 v[190:191], v[190:191], v[47:48]
	v_mul_f64 v[180:181], v[200:201], s[16:17]
	v_add_f64 v[21:22], v[192:193], v[21:22]
	v_add_f64 v[190:191], v[190:191], v[194:195]
	;; [unrolled: 1-line block ×3, first 2 shown]
	v_mul_f64 v[194:195], v[251:252], s[26:27]
	v_mul_f64 v[192:193], v[204:205], s[24:25]
	v_add_f64 v[180:181], v[180:181], v[190:191]
	v_add_f64 v[194:195], v[61:62], -v[194:195]
	v_add_f64 v[192:193], v[192:193], v[51:52]
	v_mul_f64 v[190:191], v[239:240], s[38:39]
	v_add_f64 v[21:22], v[194:195], v[21:22]
	v_mul_f64 v[194:195], v[208:209], s[20:21]
	v_add_f64 v[190:191], v[65:66], -v[190:191]
	v_add_f64 v[180:181], v[192:193], v[180:181]
	v_mul_f64 v[192:193], v[245:246], s[42:43]
	v_add_f64 v[194:195], v[194:195], v[57:58]
	v_add_f64 v[21:22], v[190:191], v[21:22]
	v_mul_f64 v[190:191], v[210:211], s[28:29]
	v_add_f64 v[192:193], v[86:87], -v[192:193]
	v_add_f64 v[180:181], v[194:195], v[180:181]
	v_mul_f64 v[194:195], v[219:220], s[34:35]
	v_add_f64 v[190:191], v[190:191], v[59:60]
	v_add_f64 v[192:193], v[192:193], v[21:22]
	v_mul_f64 v[21:22], v[212:213], s[30:31]
	v_add_f64 v[194:195], v[194:195], v[63:64]
	;; [unrolled: 3-line block ×3, first 2 shown]
	v_mul_f64 v[21:22], v[233:234], s[18:19]
	s_clause 0x1
	buffer_load_dword v84, off, s[60:63], 0 offset:468
	buffer_load_dword v85, off, s[60:63], 0 offset:472
	v_add_f64 v[49:50], v[194:195], v[180:181]
	v_add_f64 v[190:191], v[235:236], -v[190:191]
	v_mul_f64 v[235:236], v[243:244], s[44:45]
	v_fma_f64 v[180:181], v[198:199], s[16:17], -v[21:22]
	v_mul_f64 v[243:244], v[243:244], s[22:23]
	v_fma_f64 v[21:22], v[198:199], s[16:17], v[21:22]
	v_add_f64 v[150:151], v[180:181], v[150:151]
	v_mul_f64 v[180:181], v[237:238], s[36:37]
	v_fma_f64 v[194:195], v[202:203], s[24:25], -v[180:181]
	v_add_f64 v[150:151], v[194:195], v[150:151]
	v_mul_f64 v[194:195], v[67:68], s[18:19]
	v_fma_f64 v[162:163], v[196:197], s[16:17], v[194:195]
	s_waitcnt vmcnt(2)
	v_add_f64 v[162:163], v[162:163], v[27:28]
	v_fma_f64 v[27:28], v[206:207], s[28:29], -v[235:236]
	v_add_f64 v[27:28], v[27:28], v[150:151]
	v_mul_f64 v[150:151], v[69:70], s[36:37]
	v_fma_f64 v[45:46], v[200:201], s[24:25], v[150:151]
	v_add_f64 v[45:46], v[45:46], v[162:163]
	v_mul_f64 v[162:163], v[251:252], s[22:23]
	v_fma_f64 v[51:52], v[217:218], s[2:3], -v[162:163]
	v_add_f64 v[27:28], v[51:52], v[27:28]
	v_mul_f64 v[51:52], v[71:72], s[44:45]
	v_fma_f64 v[53:54], v[204:205], s[28:29], v[51:52]
	v_fma_f64 v[51:52], v[204:205], s[28:29], -v[51:52]
	v_add_f64 v[45:46], v[53:54], v[45:46]
	v_mul_f64 v[53:54], v[239:240], s[40:41]
	v_fma_f64 v[55:56], v[223:224], s[30:31], -v[53:54]
	v_add_f64 v[27:28], v[55:56], v[27:28]
	v_mul_f64 v[55:56], v[247:248], s[22:23]
	v_fma_f64 v[57:58], v[208:209], s[2:3], v[55:56]
	v_fma_f64 v[55:56], v[208:209], s[2:3], -v[55:56]
	v_add_f64 v[45:46], v[57:58], v[45:46]
	v_mul_f64 v[57:58], v[245:246], s[46:47]
	v_fma_f64 v[59:60], v[221:222], s[8:9], -v[57:58]
	v_fma_f64 v[57:58], v[221:222], s[8:9], v[57:58]
	v_add_f64 v[27:28], v[59:60], v[27:28]
	v_mul_f64 v[59:60], v[253:254], s[40:41]
	v_fma_f64 v[61:62], v[210:211], s[30:31], v[59:60]
	v_add_f64 v[45:46], v[61:62], v[45:46]
	v_mul_f64 v[61:62], v[229:230], s[46:47]
	v_fma_f64 v[63:64], v[219:220], s[8:9], v[61:62]
	v_fma_f64 v[61:62], v[219:220], s[8:9], -v[61:62]
	v_add_f64 v[45:46], v[63:64], v[45:46]
	v_mul_f64 v[63:64], v[233:234], s[50:51]
	v_mul_f64 v[233:234], v[237:238], s[26:27]
	v_fma_f64 v[65:66], v[198:199], s[30:31], -v[63:64]
	v_fma_f64 v[237:238], v[202:203], s[20:21], -v[233:234]
	s_waitcnt vmcnt(0)
	v_add_f64 v[65:66], v[65:66], v[84:85]
	v_mov_b32_e32 v87, v83
	v_mov_b32_e32 v86, v82
	;; [unrolled: 1-line block ×12, first 2 shown]
	v_add_f64 v[65:66], v[237:238], v[65:66]
	v_mul_f64 v[237:238], v[67:68], s[50:51]
	s_clause 0x1
	buffer_load_dword v67, off, s[60:63], 0 offset:460
	buffer_load_dword v68, off, s[60:63], 0 offset:464
	v_fma_f64 v[241:242], v[196:197], s[30:31], v[237:238]
	s_waitcnt vmcnt(0)
	v_add_f64 v[241:242], v[241:242], v[67:68]
	v_fma_f64 v[67:68], v[206:207], s[2:3], -v[243:244]
	v_add_f64 v[65:66], v[67:68], v[65:66]
	v_mul_f64 v[67:68], v[69:70], s[26:27]
	v_fma_f64 v[69:70], v[200:201], s[20:21], v[67:68]
	v_fma_f64 v[67:68], v[200:201], s[20:21], -v[67:68]
	v_add_f64 v[69:70], v[69:70], v[241:242]
	v_mul_f64 v[241:242], v[251:252], s[18:19]
	v_fma_f64 v[251:252], v[217:218], s[16:17], -v[241:242]
	v_add_f64 v[65:66], v[251:252], v[65:66]
	v_mul_f64 v[251:252], v[71:72], s[22:23]
	v_fma_f64 v[71:72], v[204:205], s[2:3], v[251:252]
	v_add_f64 v[69:70], v[71:72], v[69:70]
	v_mul_f64 v[71:72], v[239:240], s[48:49]
	v_fma_f64 v[73:74], v[223:224], s[34:35], -v[71:72]
	v_add_f64 v[65:66], v[73:74], v[65:66]
	v_mul_f64 v[73:74], v[247:248], s[18:19]
	v_fma_f64 v[239:240], v[208:209], s[16:17], v[73:74]
	v_add_f64 v[69:70], v[239:240], v[69:70]
	v_mul_f64 v[239:240], v[245:246], s[38:39]
	v_fma_f64 v[245:246], v[221:222], s[28:29], -v[239:240]
	v_add_f64 v[65:66], v[245:246], v[65:66]
	v_mul_f64 v[245:246], v[253:254], s[48:49]
	v_fma_f64 v[247:248], v[210:211], s[34:35], v[245:246]
	v_add_f64 v[69:70], v[247:248], v[69:70]
	v_mul_f64 v[247:248], v[229:230], s[38:39]
	s_clause 0x1
	buffer_load_dword v229, off, s[60:63], 0 offset:436
	buffer_load_dword v230, off, s[60:63], 0 offset:440
	v_fma_f64 v[253:254], v[219:220], s[28:29], v[247:248]
	v_add_f64 v[69:70], v[253:254], v[69:70]
	s_waitcnt vmcnt(0)
	v_add_f64 v[0:1], v[0:1], v[229:230]
	s_clause 0x1
	buffer_load_dword v229, off, s[60:63], 0 offset:428
	buffer_load_dword v230, off, s[60:63], 0 offset:432
	v_add_f64 v[0:1], v[12:13], v[0:1]
	v_fma_f64 v[12:13], v[200:201], s[28:29], v[148:149]
	s_waitcnt vmcnt(0)
	v_add_f64 v[8:9], v[8:9], v[229:230]
	v_add_f64 v[8:9], v[12:13], v[8:9]
	v_fma_f64 v[12:13], v[206:207], s[30:31], -v[170:171]
	v_add_f64 v[0:1], v[12:13], v[0:1]
	v_fma_f64 v[12:13], v[204:205], s[30:31], v[172:173]
	v_add_f64 v[8:9], v[12:13], v[8:9]
	v_fma_f64 v[12:13], v[217:218], s[34:35], -v[184:185]
	v_add_f64 v[0:1], v[12:13], v[0:1]
	v_fma_f64 v[12:13], v[208:209], s[34:35], v[186:187]
	;; [unrolled: 4-line block ×4, first 2 shown]
	v_add_f64 v[12:13], v[12:13], v[8:9]
	v_fma_f64 v[8:9], v[198:199], s[30:31], v[63:64]
	s_clause 0x3
	buffer_load_dword v63, off, s[60:63], 0 offset:420
	buffer_load_dword v64, off, s[60:63], 0 offset:424
	;; [unrolled: 1-line block ×4, first 2 shown]
	s_waitcnt vmcnt(2)
	v_add_f64 v[8:9], v[8:9], v[63:64]
	v_fma_f64 v[63:64], v[196:197], s[30:31], -v[237:238]
	s_waitcnt vmcnt(0)
	v_add_f64 v[63:64], v[63:64], v[148:149]
	v_fma_f64 v[148:149], v[202:203], s[20:21], v[233:234]
	v_add_f64 v[63:64], v[67:68], v[63:64]
	v_add_f64 v[8:9], v[148:149], v[8:9]
	v_fma_f64 v[67:68], v[206:207], s[2:3], v[243:244]
	v_add_f64 v[8:9], v[67:68], v[8:9]
	v_fma_f64 v[67:68], v[204:205], s[2:3], -v[251:252]
	v_add_f64 v[63:64], v[67:68], v[63:64]
	v_fma_f64 v[67:68], v[217:218], s[16:17], v[241:242]
	v_mov_b32_e32 v242, v75
	v_mov_b32_e32 v75, v78
	v_add_f64 v[8:9], v[67:68], v[8:9]
	v_fma_f64 v[67:68], v[208:209], s[16:17], -v[73:74]
	v_fma_f64 v[73:74], v[217:218], s[2:3], v[162:163]
	v_add_f64 v[63:64], v[67:68], v[63:64]
	v_fma_f64 v[67:68], v[223:224], s[34:35], v[71:72]
	v_add_f64 v[8:9], v[67:68], v[8:9]
	v_fma_f64 v[67:68], v[210:211], s[34:35], -v[245:246]
	v_add_f64 v[63:64], v[67:68], v[63:64]
	s_clause 0x3
	buffer_load_dword v67, off, s[60:63], 0 offset:388
	buffer_load_dword v68, off, s[60:63], 0 offset:392
	;; [unrolled: 1-line block ×4, first 2 shown]
	s_waitcnt vmcnt(2)
	v_add_f64 v[21:22], v[21:22], v[67:68]
	v_fma_f64 v[67:68], v[196:197], s[16:17], -v[194:195]
	s_waitcnt vmcnt(0)
	v_add_f64 v[67:68], v[67:68], v[71:72]
	v_fma_f64 v[71:72], v[202:203], s[24:25], v[180:181]
	v_add_f64 v[21:22], v[71:72], v[21:22]
	v_fma_f64 v[71:72], v[200:201], s[24:25], -v[150:151]
	v_add_f64 v[67:68], v[71:72], v[67:68]
	v_fma_f64 v[71:72], v[206:207], s[28:29], v[235:236]
	v_add_f64 v[51:52], v[51:52], v[67:68]
	v_add_f64 v[21:22], v[71:72], v[21:22]
	v_fma_f64 v[67:68], v[198:199], s[34:35], v[166:167]
	v_fma_f64 v[71:72], v[196:197], s[34:35], -v[176:177]
	v_add_f64 v[51:52], v[55:56], v[51:52]
	v_add_f64 v[21:22], v[73:74], v[21:22]
	s_clause 0x1
	buffer_load_dword v73, off, s[60:63], 0 offset:364
	buffer_load_dword v74, off, s[60:63], 0 offset:368
	s_waitcnt vmcnt(0)
	v_add_f64 v[67:68], v[67:68], v[73:74]
	s_clause 0x5
	buffer_load_dword v73, off, s[60:63], 0 offset:372
	buffer_load_dword v74, off, s[60:63], 0 offset:376
	;; [unrolled: 1-line block ×6, first 2 shown]
	s_waitcnt vmcnt(4)
	v_add_f64 v[71:72], v[71:72], v[73:74]
	s_waitcnt vmcnt(2)
	v_add_f64 v[10:11], v[10:11], v[148:149]
	;; [unrolled: 2-line block ×3, first 2 shown]
	v_fma_f64 v[73:74], v[202:203], s[8:9], v[231:232]
	v_fma_f64 v[148:149], v[200:201], s[8:9], -v[174:175]
	v_fma_f64 v[150:151], v[221:222], s[2:3], v[168:169]
	v_add_f64 v[10:11], v[29:30], v[10:11]
	v_add_f64 v[25:26], v[31:32], v[25:26]
	v_add_f64 v[55:56], v[73:74], v[67:68]
	v_mul_f64 v[73:74], v[2:3], s[10:11]
	v_add_f64 v[67:68], v[148:149], v[71:72]
	v_fma_f64 v[29:30], v[204:205], s[16:17], -v[178:179]
	v_fma_f64 v[31:32], v[223:224], s[30:31], v[53:54]
	v_fma_f64 v[53:54], v[217:218], s[30:31], v[156:157]
	v_fma_f64 v[156:157], v[219:220], s[30:31], -v[164:165]
	v_fma_f64 v[71:72], v[206:207], s[16:17], v[182:183]
	v_mul_f64 v[148:149], v[19:20], s[10:11]
	v_add_f64 v[10:11], v[33:34], v[10:11]
	v_add_f64 v[25:26], v[35:36], v[25:26]
	v_fma_f64 v[35:36], v[210:211], s[30:31], -v[59:60]
	v_fma_f64 v[33:34], v[208:209], s[30:31], -v[160:161]
	v_mul_f64 v[59:60], v[19:20], s[44:45]
	v_add_f64 v[29:30], v[29:30], v[67:68]
	v_fma_f64 v[67:68], v[221:222], s[28:29], v[239:240]
	v_add_f64 v[21:22], v[31:32], v[21:22]
	v_add_f64 v[31:32], v[71:72], v[55:56]
	v_fma_f64 v[55:56], v[210:211], s[8:9], -v[152:153]
	v_fma_f64 v[152:153], v[221:222], s[30:31], v[154:155]
	v_fma_f64 v[162:163], v[212:213], s[8:9], v[148:149]
	v_fma_f64 v[71:72], v[219:220], s[28:29], -v[247:248]
	v_fma_f64 v[168:169], v[212:213], s[8:9], -v[148:149]
	v_add_f64 v[148:149], v[47:48], v[49:50]
	v_add_f64 v[10:11], v[37:38], v[10:11]
	v_mul_f64 v[37:38], v[2:3], s[44:45]
	v_add_f64 v[35:36], v[35:36], v[51:52]
	v_mul_f64 v[51:52], v[2:3], s[18:19]
	;; [unrolled: 2-line block ×3, first 2 shown]
	s_clause 0x1
	buffer_load_dword v2, off, s[60:63], 0 offset:396
	buffer_load_dword v3, off, s[60:63], 0 offset:400
	v_add_f64 v[67:68], v[67:68], v[8:9]
	v_add_f64 v[29:30], v[33:34], v[29:30]
	v_fma_f64 v[33:34], v[210:211], s[24:25], -v[158:159]
	v_add_f64 v[31:32], v[53:54], v[31:32]
	v_mul_f64 v[53:54], v[19:20], s[18:19]
	v_fma_f64 v[158:159], v[212:213], s[28:29], v[59:60]
	v_add_f64 v[57:58], v[57:58], v[21:22]
	v_add_f64 v[63:64], v[71:72], v[63:64]
	v_fma_f64 v[71:72], v[214:215], s[8:9], -v[73:74]
	v_fma_f64 v[73:74], v[214:215], s[8:9], v[73:74]
	v_add_f64 v[10:11], v[41:42], v[10:11]
	v_fma_f64 v[41:42], v[214:215], s[28:29], -v[37:38]
	v_fma_f64 v[37:38], v[214:215], s[28:29], v[37:38]
	v_add_f64 v[35:36], v[61:62], v[35:36]
	v_add_f64 v[25:26], v[55:56], v[25:26]
	v_fma_f64 v[55:56], v[214:215], s[20:21], -v[39:40]
	v_fma_f64 v[39:40], v[214:215], s[20:21], v[39:40]
	v_add_f64 v[29:30], v[33:34], v[29:30]
	v_fma_f64 v[33:34], v[214:215], s[16:17], -v[51:52]
	v_add_f64 v[23:24], v[23:24], v[31:32]
	v_mul_f64 v[31:32], v[19:20], s[26:27]
	v_fma_f64 v[154:155], v[212:213], s[16:17], v[53:54]
	v_fma_f64 v[53:54], v[212:213], s[16:17], -v[53:54]
	v_fma_f64 v[51:52], v[214:215], s[16:17], v[51:52]
	v_add_f64 v[166:167], v[73:74], v[67:68]
	v_mov_b32_e32 v74, v77
	v_mov_b32_e32 v73, v76
	;; [unrolled: 1-line block ×9, first 2 shown]
	v_add_f64 v[25:26], v[156:157], v[25:26]
	v_add_f64 v[156:157], v[162:163], v[69:70]
	;; [unrolled: 1-line block ×3, first 2 shown]
	v_mov_b32_e32 v83, v87
	v_add_f64 v[29:30], v[43:44], v[29:30]
	v_fma_f64 v[43:44], v[212:213], s[28:29], -v[59:60]
	v_add_f64 v[59:60], v[152:153], v[10:11]
	v_add_f64 v[23:24], v[150:151], v[23:24]
	v_fma_f64 v[160:161], v[212:213], s[20:21], v[31:32]
	v_fma_f64 v[31:32], v[212:213], s[20:21], -v[31:32]
	v_add_f64 v[150:151], v[190:191], v[192:193]
	v_add_f64 v[176:177], v[53:54], v[25:26]
	;; [unrolled: 1-line block ×6, first 2 shown]
	s_waitcnt vmcnt(0)
	v_fma_f64 v[164:165], v[214:215], s[2:3], -v[2:3]
	s_clause 0x3
	buffer_load_dword v2, off, s[60:63], 0 offset:404
	buffer_load_dword v3, off, s[60:63], 0 offset:408
	;; [unrolled: 1-line block ×4, first 2 shown]
	v_add_f64 v[162:163], v[164:165], v[0:1]
	v_add_f64 v[164:165], v[168:169], v[63:64]
	v_add_f64 v[168:169], v[31:32], v[35:36]
	s_waitcnt vmcnt(2)
	v_fma_f64 v[2:3], v[212:213], s[2:3], v[2:3]
	s_waitcnt vmcnt(0)
	v_add_f64 v[10:11], v[33:34], v[8:9]
	s_clause 0x3
	buffer_load_dword v8, off, s[60:63], 0 offset:452
	buffer_load_dword v9, off, s[60:63], 0 offset:456
	;; [unrolled: 1-line block ×4, first 2 shown]
	v_add_f64 v[160:161], v[2:3], v[12:13]
	s_waitcnt vmcnt(2)
	v_add_f64 v[8:9], v[154:155], v[8:9]
	s_waitcnt vmcnt(0)
	v_add_f64 v[21:22], v[41:42], v[19:20]
	s_clause 0x7
	buffer_load_dword v19, off, s[60:63], 0 offset:492
	buffer_load_dword v20, off, s[60:63], 0 offset:496
	buffer_load_dword v0, off, s[60:63], 0
	buffer_load_dword v1, off, s[60:63], 0 offset:4
	buffer_load_dword v23, off, s[60:63], 0 offset:332
	;; [unrolled: 1-line block ×5, first 2 shown]
	v_add_f64 v[154:155], v[55:56], v[27:28]
	s_waitcnt vmcnt(6)
	v_add_f64 v[19:20], v[158:159], v[19:20]
	v_add_f64 v[158:159], v[71:72], v[65:66]
	s_waitcnt vmcnt(5)
	v_mul_lo_u16 v0, v0, 17
	v_and_b32_e32 v0, 0xffff, v0
	s_waitcnt vmcnt(4)
	v_lshl_add_u32 v0, v0, 4, v1
	s_waitcnt vmcnt(0)
	ds_write_b128 v0, v[23:26]
	ds_write_b128 v0, v[8:11] offset:16
	ds_write_b128 v0, v[19:22] offset:32
	;; [unrolled: 1-line block ×16, first 2 shown]
.LBB0_17:
	s_or_b32 exec_lo, exec_lo, s1
	s_waitcnt lgkmcnt(0)
	s_waitcnt_vscnt null, 0x0
	s_barrier
	buffer_gl0_inv
	ds_read_b128 v[0:3], v255 offset:9520
	ds_read_b128 v[4:7], v255 offset:10880
	;; [unrolled: 1-line block ×8, first 2 shown]
	s_clause 0xb
	buffer_load_dword v53, off, s[60:63], 0 offset:40
	buffer_load_dword v54, off, s[60:63], 0 offset:44
	;; [unrolled: 1-line block ×12, first 2 shown]
	s_waitcnt vmcnt(8) lgkmcnt(7)
	v_mul_f64 v[12:13], v[55:56], v[2:3]
	v_mul_f64 v[23:24], v[55:56], v[0:1]
	s_waitcnt vmcnt(0) lgkmcnt(5)
	v_mul_f64 v[29:30], v[65:66], v[10:11]
	v_mul_f64 v[31:32], v[65:66], v[8:9]
	s_clause 0x3
	buffer_load_dword v65, off, s[60:63], 0 offset:104
	buffer_load_dword v66, off, s[60:63], 0 offset:108
	;; [unrolled: 1-line block ×4, first 2 shown]
	v_mul_f64 v[25:26], v[51:52], v[6:7]
	v_mul_f64 v[27:28], v[51:52], v[4:5]
	v_fma_f64 v[0:1], v[53:54], v[0:1], v[12:13]
	v_fma_f64 v[2:3], v[53:54], v[2:3], -v[23:24]
	v_fma_f64 v[12:13], v[63:64], v[8:9], v[29:30]
	v_fma_f64 v[23:24], v[63:64], v[10:11], -v[31:32]
	;; [unrolled: 2-line block ×3, first 2 shown]
	s_waitcnt vmcnt(0) lgkmcnt(4)
	v_mul_f64 v[33:34], v[67:68], v[17:18]
	v_mul_f64 v[35:36], v[67:68], v[15:16]
	s_clause 0xb
	buffer_load_dword v67, off, s[60:63], 0 offset:120
	buffer_load_dword v68, off, s[60:63], 0 offset:124
	;; [unrolled: 1-line block ×12, first 2 shown]
	ds_read_b128 v[148:151], v255
	ds_read_b128 v[152:155], v255 offset:1360
	ds_read_b128 v[156:159], v255 offset:2720
	;; [unrolled: 1-line block ×5, first 2 shown]
	s_waitcnt vmcnt(0) lgkmcnt(0)
	s_barrier
	buffer_gl0_inv
	v_add_f64 v[8:9], v[148:149], -v[0:1]
	v_add_f64 v[10:11], v[150:151], -v[2:3]
	v_fma_f64 v[25:26], v[65:66], v[15:16], v[33:34]
	v_fma_f64 v[27:28], v[65:66], v[17:18], -v[35:36]
	v_add_f64 v[15:16], v[152:153], -v[4:5]
	v_add_f64 v[17:18], v[154:155], -v[6:7]
	;; [unrolled: 1-line block ×4, first 2 shown]
	v_mul_f64 v[37:38], v[69:70], v[21:22]
	v_mul_f64 v[39:40], v[69:70], v[19:20]
	;; [unrolled: 1-line block ×6, first 2 shown]
	v_fma_f64 v[29:30], v[67:68], v[19:20], v[37:38]
	v_fma_f64 v[38:39], v[67:68], v[21:22], -v[39:40]
	v_fma_f64 v[40:41], v[59:60], v[132:133], v[41:42]
	v_fma_f64 v[42:43], v[59:60], v[134:135], -v[43:44]
	;; [unrolled: 2-line block ×3, first 2 shown]
	v_add_f64 v[21:22], v[158:159], -v[23:24]
	v_add_f64 v[19:20], v[156:157], -v[12:13]
	v_fma_f64 v[132:133], v[160:161], 2.0, -v[32:33]
	v_fma_f64 v[134:135], v[162:163], 2.0, -v[34:35]
	v_add_f64 v[36:37], v[164:165], -v[29:30]
	v_add_f64 v[38:39], v[166:167], -v[38:39]
	;; [unrolled: 1-line block ×4, first 2 shown]
	v_fma_f64 v[40:41], v[148:149], 2.0, -v[8:9]
	v_fma_f64 v[42:43], v[150:151], 2.0, -v[10:11]
	v_add_f64 v[24:25], v[144:145], -v[44:45]
	v_add_f64 v[26:27], v[146:147], -v[46:47]
	v_fma_f64 v[44:45], v[152:153], 2.0, -v[15:16]
	v_fma_f64 v[46:47], v[154:155], 2.0, -v[17:18]
	;; [unrolled: 1-line block ×3, first 2 shown]
	ds_write_b128 v216, v[8:11] offset:272
	ds_write_b128 v216, v[40:43]
	buffer_load_dword v8, off, s[60:63], 0 offset:140 ; 4-byte Folded Reload
	v_fma_f64 v[50:51], v[158:159], 2.0, -v[21:22]
	v_fma_f64 v[136:137], v[164:165], 2.0, -v[36:37]
	;; [unrolled: 1-line block ×7, first 2 shown]
	s_waitcnt vmcnt(0)
	ds_write_b128 v8, v[44:47]
	ds_write_b128 v8, v[15:18] offset:272
	buffer_load_dword v8, off, s[60:63], 0 offset:136 ; 4-byte Folded Reload
	s_waitcnt vmcnt(0)
	ds_write_b128 v8, v[48:51]
	ds_write_b128 v8, v[19:22] offset:272
	ds_write_b128 v75, v[132:135]
	ds_write_b128 v75, v[32:35] offset:272
	;; [unrolled: 2-line block ×4, first 2 shown]
	buffer_load_dword v8, off, s[60:63], 0 offset:264 ; 4-byte Folded Reload
	s_waitcnt vmcnt(0)
	ds_write_b128 v8, v[28:31]
	ds_write_b128 v8, v[24:27] offset:272
	s_waitcnt lgkmcnt(0)
	s_barrier
	buffer_gl0_inv
	ds_read_b128 v[36:39], v255
	ds_read_b128 v[32:35], v255 offset:1360
	ds_read_b128 v[144:147], v255 offset:3808
	ds_read_b128 v[40:43], v255 offset:5168
	ds_read_b128 v[148:151], v255 offset:7616
	ds_read_b128 v[44:47], v255 offset:8976
	ds_read_b128 v[136:139], v255 offset:11424
	ds_read_b128 v[48:51], v255 offset:12784
	ds_read_b128 v[152:155], v255 offset:15232
	ds_read_b128 v[132:135], v255 offset:16592
	s_and_saveexec_b32 s1, s0
	s_cbranch_execz .LBB0_19
; %bb.18:
	ds_read_b128 v[0:3], v255 offset:2720
	ds_read_b128 v[4:7], v255 offset:6528
	;; [unrolled: 1-line block ×5, first 2 shown]
.LBB0_19:
	s_or_b32 exec_lo, exec_lo, s1
	s_clause 0xf
	buffer_load_dword v164, off, s[60:63], 0 offset:224
	buffer_load_dword v165, off, s[60:63], 0 offset:228
	;; [unrolled: 1-line block ×16, first 2 shown]
	s_waitcnt lgkmcnt(6)
	v_mul_f64 v[54:55], v[78:79], v[42:43]
	v_mul_f64 v[60:61], v[78:79], v[40:41]
	s_waitcnt lgkmcnt(0)
	v_mul_f64 v[64:65], v[82:83], v[134:135]
	v_mul_f64 v[68:69], v[82:83], v[132:133]
	s_mov_b32 s8, 0x134454ff
	s_mov_b32 s9, 0xbfee6f0e
	;; [unrolled: 1-line block ×10, first 2 shown]
	v_fma_f64 v[40:41], v[76:77], v[40:41], v[54:55]
	v_fma_f64 v[42:43], v[76:77], v[42:43], -v[60:61]
	v_fma_f64 v[54:55], v[80:81], v[134:135], -v[68:69]
	s_waitcnt vmcnt(12)
	v_mul_f64 v[8:9], v[166:167], v[146:147]
	s_waitcnt vmcnt(8)
	v_mul_f64 v[12:13], v[72:73], v[150:151]
	v_mul_f64 v[15:16], v[72:73], v[148:149]
	s_clause 0x7
	buffer_load_dword v72, off, s[60:63], 0 offset:144
	buffer_load_dword v73, off, s[60:63], 0 offset:148
	;; [unrolled: 1-line block ×8, first 2 shown]
	v_mul_f64 v[10:11], v[166:167], v[144:145]
	s_waitcnt vmcnt(12)
	v_mul_f64 v[17:18], v[158:159], v[138:139]
	s_waitcnt vmcnt(8)
	v_mul_f64 v[19:20], v[162:163], v[152:153]
	v_mul_f64 v[21:22], v[162:163], v[154:155]
	v_mul_f64 v[52:53], v[158:159], v[136:137]
	s_waitcnt vmcnt(0)
	s_barrier
	buffer_gl0_inv
	v_fma_f64 v[8:9], v[164:165], v[144:145], v[8:9]
	v_fma_f64 v[12:13], v[70:71], v[148:149], v[12:13]
	v_fma_f64 v[15:16], v[70:71], v[150:151], -v[15:16]
	v_add_f64 v[148:149], v[42:43], v[54:55]
	v_add_f64 v[150:151], v[32:33], v[40:41]
	v_fma_f64 v[10:11], v[164:165], v[146:147], -v[10:11]
	v_fma_f64 v[17:18], v[156:157], v[136:137], v[17:18]
	v_fma_f64 v[70:71], v[160:161], v[154:155], -v[19:20]
	v_fma_f64 v[19:20], v[160:161], v[152:153], v[21:22]
	;; [unrolled: 2-line block ×3, first 2 shown]
	v_add_f64 v[160:161], v[34:35], v[42:43]
	v_add_f64 v[152:153], v[42:43], -v[54:55]
	v_add_f64 v[80:81], v[38:39], v[10:11]
	v_add_f64 v[132:133], v[12:13], -v[17:18]
	;; [unrolled: 2-line block ×5, first 2 shown]
	v_add_f64 v[10:11], v[15:16], -v[10:11]
	v_add_f64 v[146:147], v[21:22], -v[70:71]
	;; [unrolled: 1-line block ×4, first 2 shown]
	v_add_f64 v[15:16], v[80:81], v[15:16]
	v_fma_f64 v[68:69], v[68:69], -0.5, v[38:39]
	v_fma_f64 v[38:39], v[76:77], -0.5, v[38:39]
	v_add_f64 v[21:22], v[15:16], v[21:22]
	v_mul_f64 v[56:57], v[74:75], v[46:47]
	v_mul_f64 v[58:59], v[86:87], v[50:51]
	;; [unrolled: 1-line block ×4, first 2 shown]
	v_add_f64 v[74:75], v[12:13], -v[8:9]
	v_fma_f64 v[44:45], v[72:73], v[44:45], v[56:57]
	v_fma_f64 v[48:49], v[84:85], v[48:49], v[58:59]
	v_fma_f64 v[46:47], v[72:73], v[46:47], -v[62:63]
	v_fma_f64 v[50:51], v[84:85], v[50:51], -v[66:67]
	v_add_f64 v[56:57], v[36:37], v[8:9]
	v_add_f64 v[58:59], v[12:13], v[17:18]
	;; [unrolled: 1-line block ×3, first 2 shown]
	v_add_f64 v[66:67], v[8:9], -v[12:13]
	v_add_f64 v[72:73], v[19:20], -v[17:18]
	;; [unrolled: 1-line block ×3, first 2 shown]
	v_add_f64 v[74:75], v[74:75], v[78:79]
	v_add_f64 v[154:155], v[40:41], -v[44:45]
	v_add_f64 v[82:83], v[44:45], v[48:49]
	v_add_f64 v[158:159], v[44:45], -v[40:41]
	v_add_f64 v[144:145], v[46:47], v[50:51]
	v_add_f64 v[12:13], v[56:57], v[12:13]
	v_fma_f64 v[58:59], v[58:59], -0.5, v[36:37]
	v_fma_f64 v[36:37], v[62:63], -0.5, v[36:37]
	v_add_f64 v[62:63], v[46:47], -v[50:51]
	v_add_f64 v[66:67], v[66:67], v[72:73]
	v_fma_f64 v[80:81], v[8:9], s[16:17], v[68:69]
	v_fma_f64 v[68:69], v[8:9], s[8:9], v[68:69]
	;; [unrolled: 1-line block ×4, first 2 shown]
	v_add_f64 v[40:41], v[40:41], -v[52:53]
	v_add_f64 v[162:163], v[44:45], -v[48:49]
	;; [unrolled: 1-line block ×4, first 2 shown]
	v_add_f64 v[44:45], v[150:151], v[44:45]
	v_add_f64 v[46:47], v[160:161], v[46:47]
	v_add_f64 v[156:157], v[52:53], -v[48:49]
	v_add_f64 v[76:77], v[48:49], -v[52:53]
	;; [unrolled: 1-line block ×3, first 2 shown]
	v_fma_f64 v[82:83], v[82:83], -0.5, v[32:33]
	v_fma_f64 v[32:33], v[136:137], -0.5, v[32:33]
	;; [unrolled: 1-line block ×4, first 2 shown]
	v_fma_f64 v[148:149], v[60:61], s[8:9], v[58:59]
	v_fma_f64 v[58:59], v[60:61], s[16:17], v[58:59]
	;; [unrolled: 1-line block ×4, first 2 shown]
	v_add_f64 v[12:13], v[12:13], v[17:18]
	v_fma_f64 v[68:69], v[132:133], s[2:3], v[68:69]
	v_fma_f64 v[72:73], v[8:9], s[10:11], v[72:73]
	;; [unrolled: 1-line block ×3, first 2 shown]
	v_add_f64 v[144:145], v[50:51], -v[54:55]
	v_add_nc_u32_e32 v8, 0x550, v14
	v_add_f64 v[44:45], v[44:45], v[48:49]
	v_add_f64 v[46:47], v[46:47], v[50:51]
	;; [unrolled: 1-line block ×3, first 2 shown]
	v_fma_f64 v[78:79], v[152:153], s[8:9], v[82:83]
	v_fma_f64 v[17:18], v[62:63], s[8:9], v[32:33]
	;; [unrolled: 1-line block ×9, first 2 shown]
	v_add_f64 v[132:133], v[10:11], v[146:147]
	v_add_f64 v[9:10], v[12:13], v[19:20]
	buffer_load_dword v13, off, s[60:63], 0 offset:260 ; 4-byte Folded Reload
	v_add_f64 v[80:81], v[134:135], v[138:139]
	v_fma_f64 v[32:33], v[40:41], s[16:17], v[136:137]
	v_fma_f64 v[160:161], v[162:163], s[8:9], v[34:35]
	;; [unrolled: 1-line block ×3, first 2 shown]
	v_add_f64 v[11:12], v[21:22], v[70:71]
	v_fma_f64 v[136:137], v[40:41], s[8:9], v[136:137]
	v_add_f64 v[138:139], v[164:165], v[56:57]
	v_add_f64 v[144:145], v[42:43], v[144:145]
	;; [unrolled: 1-line block ×3, first 2 shown]
	v_fma_f64 v[48:49], v[62:63], s[2:3], v[78:79]
	v_fma_f64 v[134:135], v[152:153], s[10:11], v[17:18]
	;; [unrolled: 1-line block ×6, first 2 shown]
	v_add_f64 v[78:79], v[154:155], v[156:157]
	v_fma_f64 v[36:37], v[74:75], s[18:19], v[36:37]
	v_fma_f64 v[38:39], v[132:133], s[18:19], v[38:39]
	;; [unrolled: 1-line block ×10, first 2 shown]
	v_add_f64 v[40:41], v[44:45], v[52:53]
	s_waitcnt vmcnt(0)
	ds_write_b128 v13, v[9:12]
	ds_write_b128 v13, v[15:18] offset:544
	ds_write_b128 v13, v[32:35] offset:1088
	;; [unrolled: 1-line block ×4, first 2 shown]
	buffer_load_dword v9, off, s[60:63], 0 offset:256 ; 4-byte Folded Reload
	v_fma_f64 v[44:45], v[78:79], s[18:19], v[48:49]
	v_fma_f64 v[46:47], v[138:139], s[18:19], v[50:51]
	;; [unrolled: 1-line block ×8, first 2 shown]
	s_waitcnt vmcnt(0)
	ds_write_b128 v9, v[40:43]
	ds_write_b128 v9, v[44:47] offset:544
	ds_write_b128 v9, v[52:55] offset:1088
	ds_write_b128 v9, v[56:59] offset:1632
	ds_write_b128 v9, v[48:51] offset:2176
	s_and_saveexec_b32 s1, s0
	s_cbranch_execz .LBB0_21
; %bb.20:
	s_clause 0xf
	buffer_load_dword v48, off, s[60:63], 0 offset:316
	buffer_load_dword v49, off, s[60:63], 0 offset:320
	;; [unrolled: 1-line block ×16, first 2 shown]
	v_mov_b32_e32 v13, 0xaa
	s_waitcnt vmcnt(12)
	v_mul_f64 v[9:10], v[50:51], v[28:29]
	s_waitcnt vmcnt(8)
	v_mul_f64 v[11:12], v[38:39], v[4:5]
	;; [unrolled: 2-line block ×4, first 2 shown]
	v_mul_f64 v[19:20], v[50:51], v[30:31]
	v_mul_f64 v[21:22], v[46:47], v[26:27]
	;; [unrolled: 1-line block ×4, first 2 shown]
	v_fma_f64 v[9:10], v[48:49], v[30:31], -v[9:10]
	v_fma_f64 v[6:7], v[36:37], v[6:7], -v[11:12]
	;; [unrolled: 1-line block ×4, first 2 shown]
	v_fma_f64 v[17:18], v[48:49], v[28:29], v[19:20]
	v_fma_f64 v[19:20], v[44:45], v[24:25], v[21:22]
	;; [unrolled: 1-line block ×4, first 2 shown]
	v_add_f64 v[35:36], v[2:3], v[6:7]
	v_add_f64 v[23:24], v[6:7], v[11:12]
	;; [unrolled: 1-line block ×3, first 2 shown]
	v_add_f64 v[39:40], v[6:7], -v[11:12]
	v_add_f64 v[27:28], v[17:18], v[19:20]
	v_add_f64 v[31:32], v[17:18], -v[19:20]
	v_add_f64 v[29:30], v[4:5], v[21:22]
	;; [unrolled: 2-line block ×3, first 2 shown]
	v_add_f64 v[41:42], v[15:16], -v[11:12]
	v_add_f64 v[43:44], v[11:12], -v[15:16]
	;; [unrolled: 1-line block ×6, first 2 shown]
	v_fma_f64 v[23:24], v[23:24], -0.5, v[2:3]
	v_fma_f64 v[2:3], v[25:26], -0.5, v[2:3]
	v_add_f64 v[25:26], v[9:10], -v[15:16]
	v_fma_f64 v[27:28], v[27:28], -0.5, v[0:1]
	v_fma_f64 v[0:1], v[29:30], -0.5, v[0:1]
	v_add_f64 v[29:30], v[9:10], -v[6:7]
	v_add_f64 v[6:7], v[6:7], -v[9:10]
	v_add_f64 v[9:10], v[35:36], v[9:10]
	v_add_f64 v[17:18], v[37:38], v[17:18]
	v_fma_f64 v[35:36], v[31:32], s[16:17], v[23:24]
	v_fma_f64 v[23:24], v[31:32], s[8:9], v[23:24]
	v_fma_f64 v[37:38], v[33:34], s[8:9], v[2:3]
	v_fma_f64 v[2:3], v[33:34], s[16:17], v[2:3]
	v_fma_f64 v[51:52], v[39:40], s[8:9], v[27:28]
	v_fma_f64 v[53:54], v[25:26], s[16:17], v[0:1]
	v_fma_f64 v[0:1], v[25:26], s[8:9], v[0:1]
	v_add_f64 v[29:30], v[29:30], v[41:42]
	v_add_f64 v[41:42], v[6:7], v[43:44]
	;; [unrolled: 1-line block ×6, first 2 shown]
	v_fma_f64 v[27:28], v[39:40], s[16:17], v[27:28]
	v_fma_f64 v[9:10], v[33:34], s[2:3], v[35:36]
	;; [unrolled: 1-line block ×8, first 2 shown]
	v_add_f64 v[2:3], v[4:5], v[11:12]
	v_add_f64 v[0:1], v[6:7], v[21:22]
	v_fma_f64 v[25:26], v[25:26], s[10:11], v[27:28]
	v_fma_f64 v[6:7], v[29:30], s[18:19], v[9:10]
	;; [unrolled: 1-line block ×6, first 2 shown]
	buffer_load_dword v23, off, s[60:63], 0 offset:16 ; 4-byte Folded Reload
	v_fma_f64 v[9:10], v[43:44], s[18:19], v[31:32]
	v_fma_f64 v[4:5], v[43:44], s[18:19], v[33:34]
	;; [unrolled: 1-line block ×3, first 2 shown]
	s_waitcnt vmcnt(0)
	v_mul_u32_u24_sdwa v13, v23, v13 dst_sel:DWORD dst_unused:UNUSED_PAD src0_sel:WORD_0 src1_sel:DWORD
	buffer_load_dword v23, off, s[60:63], 0 offset:20 ; 4-byte Folded Reload
	s_waitcnt vmcnt(0)
	v_add_nc_u32_sdwa v13, v13, v23 dst_sel:DWORD dst_unused:UNUSED_PAD src0_sel:DWORD src1_sel:BYTE_0
	buffer_load_dword v23, off, s[60:63], 0 offset:4 ; 4-byte Folded Reload
	s_waitcnt vmcnt(0)
	v_lshl_add_u32 v13, v13, 4, v23
	ds_write_b128 v13, v[0:3]
	ds_write_b128 v13, v[19:22] offset:544
	ds_write_b128 v13, v[9:12] offset:1088
	;; [unrolled: 1-line block ×4, first 2 shown]
.LBB0_21:
	s_or_b32 exec_lo, exec_lo, s1
	s_waitcnt lgkmcnt(0)
	s_barrier
	buffer_gl0_inv
	ds_read_b128 v[0:3], v255 offset:2720
	ds_read_b128 v[4:7], v255 offset:5440
	ds_read_b128 v[9:12], v255 offset:13600
	ds_read_b128 v[15:18], v255 offset:16320
	ds_read_b128 v[19:22], v255 offset:8160
	ds_read_b128 v[23:26], v255 offset:10880
	ds_read_b128 v[27:30], v255 offset:4080
	ds_read_b128 v[31:34], v255 offset:6800
	ds_read_b128 v[35:38], v255 offset:14960
	ds_read_b128 v[39:42], v255 offset:17680
	ds_read_b128 v[43:46], v255
	ds_read_b128 v[47:50], v255 offset:1360
	ds_read_b128 v[51:54], v255 offset:9520
	ds_read_b128 v[55:58], v255 offset:12240
	s_clause 0x3
	buffer_load_dword v83, off, s[60:63], 0 offset:240
	buffer_load_dword v84, off, s[60:63], 0 offset:244
	;; [unrolled: 1-line block ×4, first 2 shown]
	s_mov_b32 s8, 0x37e14327
	s_mov_b32 s0, 0x36b3c0b5
	;; [unrolled: 1-line block ×8, first 2 shown]
	s_waitcnt lgkmcnt(13)
	v_mul_f64 v[59:60], v[90:91], v[2:3]
	v_mul_f64 v[61:62], v[90:91], v[0:1]
	s_waitcnt lgkmcnt(12)
	v_mul_f64 v[63:64], v[94:95], v[6:7]
	v_mul_f64 v[65:66], v[94:95], v[4:5]
	s_waitcnt lgkmcnt(11)
	v_mul_f64 v[67:68], v[98:99], v[11:12]
	s_waitcnt lgkmcnt(10)
	v_mul_f64 v[69:70], v[102:103], v[17:18]
	v_mul_f64 v[71:72], v[102:103], v[15:16]
	;; [unrolled: 1-line block ×3, first 2 shown]
	s_waitcnt lgkmcnt(9)
	v_mul_f64 v[75:76], v[130:131], v[21:22]
	v_mul_f64 v[77:78], v[130:131], v[19:20]
	s_waitcnt lgkmcnt(8)
	v_mul_f64 v[79:80], v[126:127], v[25:26]
	v_mul_f64 v[81:82], v[126:127], v[23:24]
	s_mov_b32 s18, 0x5476071b
	s_mov_b32 s22, 0xb247c609
	;; [unrolled: 1-line block ×10, first 2 shown]
	v_fma_f64 v[0:1], v[88:89], v[0:1], v[59:60]
	v_fma_f64 v[2:3], v[88:89], v[2:3], -v[61:62]
	v_fma_f64 v[4:5], v[92:93], v[4:5], v[63:64]
	v_fma_f64 v[6:7], v[92:93], v[6:7], -v[65:66]
	v_fma_f64 v[9:10], v[96:97], v[9:10], v[67:68]
	v_fma_f64 v[15:16], v[100:101], v[15:16], v[69:70]
	v_fma_f64 v[17:18], v[100:101], v[17:18], -v[71:72]
	v_fma_f64 v[11:12], v[96:97], v[11:12], -v[73:74]
	s_waitcnt lgkmcnt(6)
	v_mul_f64 v[63:64], v[110:111], v[33:34]
	v_mul_f64 v[65:66], v[110:111], v[31:32]
	s_waitcnt lgkmcnt(4)
	v_mul_f64 v[67:68], v[114:115], v[41:42]
	v_mul_f64 v[69:70], v[114:115], v[39:40]
	;; [unrolled: 1-line block ×3, first 2 shown]
	s_waitcnt lgkmcnt(1)
	v_mul_f64 v[71:72], v[106:107], v[53:54]
	v_mul_f64 v[73:74], v[106:107], v[51:52]
	v_fma_f64 v[19:20], v[128:129], v[19:20], v[75:76]
	v_fma_f64 v[21:22], v[128:129], v[21:22], -v[77:78]
	v_fma_f64 v[23:24], v[124:125], v[23:24], v[79:80]
	v_fma_f64 v[25:26], v[124:125], v[25:26], -v[81:82]
	s_waitcnt lgkmcnt(0)
	v_mul_f64 v[75:76], v[118:119], v[57:58]
	v_mul_f64 v[92:93], v[118:119], v[55:56]
	v_add_f64 v[81:82], v[4:5], v[9:10]
	v_add_f64 v[77:78], v[0:1], v[15:16]
	;; [unrolled: 1-line block ×4, first 2 shown]
	v_fma_f64 v[31:32], v[108:109], v[31:32], v[63:64]
	v_fma_f64 v[33:34], v[108:109], v[33:34], -v[65:66]
	v_fma_f64 v[39:40], v[112:113], v[39:40], v[67:68]
	v_fma_f64 v[41:42], v[112:113], v[41:42], -v[69:70]
	v_add_f64 v[4:5], v[4:5], -v[9:10]
	v_fma_f64 v[51:52], v[104:105], v[51:52], v[71:72]
	v_fma_f64 v[53:54], v[104:105], v[53:54], -v[73:74]
	v_add_f64 v[6:7], v[6:7], -v[11:12]
	v_add_f64 v[15:16], v[0:1], -v[15:16]
	;; [unrolled: 1-line block ×4, first 2 shown]
	v_fma_f64 v[55:56], v[116:117], v[55:56], v[75:76]
	v_fma_f64 v[57:58], v[116:117], v[57:58], -v[92:93]
	v_add_f64 v[17:18], v[2:3], -v[17:18]
	v_add_f64 v[63:64], v[81:82], v[77:78]
	v_add_f64 v[65:66], v[90:91], v[79:80]
	;; [unrolled: 1-line block ×4, first 2 shown]
	v_add_f64 v[75:76], v[6:7], -v[17:18]
	s_waitcnt vmcnt(0)
	v_mul_f64 v[59:60], v[85:86], v[29:30]
	v_mul_f64 v[61:62], v[85:86], v[27:28]
	v_mul_f64 v[86:87], v[122:123], v[37:38]
	v_fma_f64 v[37:38], v[120:121], v[37:38], -v[88:89]
	v_fma_f64 v[27:28], v[83:84], v[27:28], v[59:60]
	v_fma_f64 v[29:30], v[83:84], v[29:30], -v[61:62]
	v_fma_f64 v[35:36], v[120:121], v[35:36], v[86:87]
	v_add_f64 v[59:60], v[19:20], v[23:24]
	v_add_f64 v[61:62], v[21:22], v[25:26]
	;; [unrolled: 1-line block ×4, first 2 shown]
	v_add_f64 v[23:24], v[27:28], -v[39:40]
	v_add_f64 v[25:26], v[29:30], -v[41:42]
	v_add_f64 v[27:28], v[31:32], v[35:36]
	v_add_f64 v[29:30], v[33:34], v[37:38]
	v_add_f64 v[31:32], v[31:32], -v[35:36]
	v_add_f64 v[33:34], v[33:34], -v[37:38]
	;; [unrolled: 1-line block ×6, first 2 shown]
	v_add_f64 v[39:40], v[51:52], v[55:56]
	v_add_f64 v[41:42], v[59:60], v[63:64]
	;; [unrolled: 1-line block ×4, first 2 shown]
	v_add_f64 v[51:52], v[55:56], -v[51:52]
	v_add_f64 v[53:54], v[57:58], -v[53:54]
	;; [unrolled: 1-line block ×9, first 2 shown]
	v_add_f64 v[15:16], v[67:68], v[15:16]
	v_add_f64 v[71:72], v[27:28], v[19:20]
	;; [unrolled: 1-line block ×3, first 2 shown]
	v_add_f64 v[91:92], v[31:32], -v[23:24]
	v_add_f64 v[93:94], v[33:34], -v[25:26]
	v_mul_f64 v[6:7], v[0:1], s[8:9]
	v_mul_f64 v[77:78], v[2:3], s[8:9]
	;; [unrolled: 1-line block ×4, first 2 shown]
	v_add_f64 v[83:84], v[19:20], -v[39:40]
	v_add_f64 v[0:1], v[43:44], v[41:42]
	v_add_f64 v[2:3], v[45:46], v[59:60]
	v_add_f64 v[43:44], v[21:22], -v[61:62]
	v_add_f64 v[45:46], v[39:40], -v[27:28]
	;; [unrolled: 1-line block ×3, first 2 shown]
	v_mul_f64 v[55:56], v[55:56], s[10:11]
	v_add_f64 v[87:88], v[51:52], -v[31:32]
	v_add_f64 v[89:90], v[53:54], -v[33:34]
	v_mul_f64 v[57:58], v[57:58], s[10:11]
	v_add_f64 v[17:18], v[69:70], v[17:18]
	v_mul_f64 v[67:68], v[4:5], s[2:3]
	v_mul_f64 v[69:70], v[75:76], s[2:3]
	v_add_f64 v[19:20], v[27:28], -v[19:20]
	v_add_f64 v[39:40], v[39:40], v[71:72]
	v_add_f64 v[61:62], v[61:62], v[73:74]
	v_add_f64 v[21:22], v[29:30], -v[21:22]
	v_add_f64 v[27:28], v[51:52], v[31:32]
	v_fma_f64 v[35:36], v[35:36], s[0:1], v[6:7]
	v_fma_f64 v[37:38], v[37:38], s[0:1], v[77:78]
	v_fma_f64 v[71:72], v[63:64], s[18:19], -v[79:80]
	v_fma_f64 v[73:74], v[65:66], s[18:19], -v[81:82]
	;; [unrolled: 1-line block ×4, first 2 shown]
	v_add_f64 v[29:30], v[53:54], v[33:34]
	v_mul_f64 v[31:32], v[83:84], s[8:9]
	v_mul_f64 v[33:34], v[43:44], s[8:9]
	;; [unrolled: 1-line block ×3, first 2 shown]
	v_fma_f64 v[77:78], v[9:10], s[22:23], v[55:56]
	v_fma_f64 v[55:56], v[4:5], s[2:3], -v[55:56]
	v_mul_f64 v[81:82], v[87:88], s[10:11]
	v_mul_f64 v[83:84], v[93:94], s[2:3]
	;; [unrolled: 1-line block ×3, first 2 shown]
	v_fma_f64 v[41:42], v[41:42], s[16:17], v[0:1]
	v_fma_f64 v[59:60], v[59:60], s[16:17], v[2:3]
	v_fma_f64 v[79:80], v[11:12], s[22:23], v[57:58]
	v_add_f64 v[4:5], v[47:48], v[39:40]
	v_add_f64 v[6:7], v[49:50], v[61:62]
	v_mul_f64 v[47:48], v[85:86], s[0:1]
	v_add_f64 v[49:50], v[23:24], -v[51:52]
	v_add_f64 v[51:52], v[25:26], -v[53:54]
	v_mul_f64 v[53:54], v[89:90], s[10:11]
	v_fma_f64 v[9:10], v[9:10], s[24:25], -v[67:68]
	v_fma_f64 v[11:12], v[11:12], s[24:25], -v[69:70]
	;; [unrolled: 1-line block ×3, first 2 shown]
	v_add_f64 v[23:24], v[27:28], v[23:24]
	v_add_f64 v[25:26], v[29:30], v[25:26]
	v_fma_f64 v[43:44], v[19:20], s[18:19], -v[43:44]
	v_fma_f64 v[19:20], v[19:20], s[20:21], -v[31:32]
	v_add_f64 v[35:36], v[35:36], v[41:42]
	v_add_f64 v[37:38], v[37:38], v[59:60]
	;; [unrolled: 1-line block ×3, first 2 shown]
	v_fma_f64 v[27:28], v[39:40], s[16:17], v[4:5]
	v_fma_f64 v[29:30], v[61:62], s[16:17], v[6:7]
	;; [unrolled: 1-line block ×4, first 2 shown]
	v_fma_f64 v[47:48], v[21:22], s[18:19], -v[47:48]
	v_fma_f64 v[21:22], v[21:22], s[20:21], -v[33:34]
	v_fma_f64 v[31:32], v[51:52], s[22:23], v[53:54]
	v_fma_f64 v[33:34], v[49:50], s[22:23], v[81:82]
	v_fma_f64 v[51:52], v[51:52], s[24:25], -v[83:84]
	v_fma_f64 v[49:50], v[49:50], s[24:25], -v[87:88]
	;; [unrolled: 1-line block ×4, first 2 shown]
	s_mov_b32 s0, 0x37c3f68c
	s_mov_b32 s1, 0xbfdc38aa
	v_add_f64 v[69:70], v[73:74], v[59:60]
	v_add_f64 v[41:42], v[63:64], v[41:42]
	v_add_f64 v[59:60], v[65:66], v[59:60]
	v_fma_f64 v[63:64], v[17:18], s[0:1], v[79:80]
	v_fma_f64 v[65:66], v[15:16], s[0:1], v[77:78]
	;; [unrolled: 1-line block ×6, first 2 shown]
	v_add_f64 v[83:84], v[19:20], v[27:28]
	v_add_f64 v[75:76], v[39:40], v[27:28]
	;; [unrolled: 1-line block ×5, first 2 shown]
	v_fma_f64 v[87:88], v[25:26], s[0:1], v[31:32]
	v_fma_f64 v[89:90], v[23:24], s[0:1], v[33:34]
	;; [unrolled: 1-line block ×4, first 2 shown]
	v_add_f64 v[81:82], v[47:48], v[29:30]
	v_fma_f64 v[47:48], v[25:26], s[0:1], v[53:54]
	v_fma_f64 v[49:50], v[23:24], s[0:1], v[61:62]
	s_and_b32 s0, exec_lo, vcc_lo
	v_add_f64 v[9:10], v[63:64], v[35:36]
	v_add_f64 v[11:12], v[37:38], -v[65:66]
	v_add_f64 v[15:16], v[71:72], v[41:42]
	v_add_f64 v[17:18], v[59:60], -v[73:74]
	v_add_f64 v[19:20], v[67:68], -v[57:58]
	v_add_f64 v[21:22], v[55:56], v[69:70]
	v_add_f64 v[23:24], v[57:58], v[67:68]
	v_add_f64 v[25:26], v[69:70], -v[55:56]
	v_add_f64 v[27:28], v[41:42], -v[71:72]
	v_add_f64 v[29:30], v[73:74], v[59:60]
	v_add_f64 v[31:32], v[35:36], -v[63:64]
	v_add_f64 v[33:34], v[65:66], v[37:38]
	v_add_f64 v[35:36], v[87:88], v[75:76]
	v_add_f64 v[37:38], v[77:78], -v[89:90]
	v_add_f64 v[39:40], v[51:52], v[83:84]
	v_add_f64 v[41:42], v[85:86], -v[91:92]
	v_add_f64 v[43:44], v[79:80], -v[47:48]
	v_add_f64 v[45:46], v[49:50], v[81:82]
	v_add_f64 v[47:48], v[47:48], v[79:80]
	v_add_f64 v[49:50], v[81:82], -v[49:50]
	v_add_f64 v[51:52], v[83:84], -v[51:52]
	v_add_f64 v[53:54], v[91:92], v[85:86]
	v_add_f64 v[55:56], v[75:76], -v[87:88]
	v_add_f64 v[57:58], v[89:90], v[77:78]
	ds_write_b128 v14, v[0:3]
	ds_write_b128 v14, v[9:12] offset:2720
	ds_write_b128 v14, v[15:18] offset:5440
	;; [unrolled: 1-line block ×13, first 2 shown]
	s_waitcnt lgkmcnt(0)
	s_barrier
	buffer_gl0_inv
	s_clause 0x1
	buffer_load_dword v18, off, s[60:63], 0 offset:8
	buffer_load_dword v19, off, s[60:63], 0 offset:12
	s_mov_b32 exec_lo, s0
	s_cbranch_execz .LBB0_23
; %bb.22:
	global_load_dwordx4 v[0:3], v242, s[12:13]
	ds_read_b128 v[4:7], v14
	ds_read_b128 v[8:11], v14 offset:1120
	buffer_load_dword v17, off, s[60:63], 0 ; 4-byte Folded Reload
	s_waitcnt vmcnt(3)
	v_mad_u64_u32 v[15:16], null, s6, v18, 0
	s_mov_b32 s0, 0x1b89401c
	s_mov_b32 s1, 0x3f4b8940
	s_mul_i32 s3, s4, 0x460
	s_waitcnt vmcnt(1) lgkmcnt(1)
	v_mul_f64 v[12:13], v[6:7], v[2:3]
	v_mul_f64 v[2:3], v[4:5], v[2:3]
	v_fma_f64 v[4:5], v[4:5], v[0:1], v[12:13]
	v_fma_f64 v[2:3], v[0:1], v[6:7], -v[2:3]
	s_waitcnt vmcnt(0)
	v_mad_u64_u32 v[6:7], null, s4, v17, 0
	v_mov_b32_e32 v0, v16
	v_mov_b32_e32 v1, v7
	v_mad_u64_u32 v[12:13], null, s7, v18, v[0:1]
	v_mov_b32_e32 v16, v12
	v_mad_u64_u32 v[17:18], null, s5, v17, v[1:2]
	v_mul_f64 v[0:1], v[4:5], s[0:1]
	v_mul_f64 v[2:3], v[2:3], s[0:1]
	v_lshlrev_b64 v[4:5], 4, v[15:16]
	v_mov_b32_e32 v7, v17
	v_add_co_u32 v4, vcc_lo, s14, v4
	v_add_co_ci_u32_e32 v5, vcc_lo, s15, v5, vcc_lo
	v_lshlrev_b64 v[6:7], 4, v[6:7]
	v_add_co_u32 v6, vcc_lo, v4, v6
	v_add_co_ci_u32_e32 v7, vcc_lo, v5, v7, vcc_lo
	v_add_co_u32 v15, vcc_lo, v6, s3
	global_store_dwordx4 v[6:7], v[0:3], off
	global_load_dwordx4 v[0:3], v242, s[12:13] offset:1120
	s_waitcnt vmcnt(0) lgkmcnt(0)
	v_mul_f64 v[4:5], v[10:11], v[2:3]
	v_mul_f64 v[2:3], v[8:9], v[2:3]
	v_fma_f64 v[4:5], v[8:9], v[0:1], v[4:5]
	v_fma_f64 v[0:1], v[0:1], v[10:11], -v[2:3]
	v_mul_f64 v[2:3], v[4:5], s[0:1]
	v_mul_f64 v[4:5], v[0:1], s[0:1]
	v_add_co_u32 v0, s2, s12, v242
	v_add_co_ci_u32_e64 v1, null, s13, 0, s2
	s_mul_i32 s2, s5, 0x460
	s_mul_hi_u32 s5, s4, 0x460
	s_add_i32 s2, s5, s2
	v_add_co_ci_u32_e32 v16, vcc_lo, s2, v7, vcc_lo
	v_add_co_u32 v17, vcc_lo, 0x800, v0
	v_add_co_ci_u32_e32 v18, vcc_lo, 0, v1, vcc_lo
	global_store_dwordx4 v[15:16], v[2:5], off
	global_load_dwordx4 v[2:5], v[17:18], off offset:192
	ds_read_b128 v[6:9], v14 offset:2240
	ds_read_b128 v[10:13], v14 offset:3360
	s_waitcnt vmcnt(0) lgkmcnt(1)
	v_mul_f64 v[19:20], v[8:9], v[4:5]
	v_mul_f64 v[4:5], v[6:7], v[4:5]
	v_fma_f64 v[6:7], v[6:7], v[2:3], v[19:20]
	v_fma_f64 v[4:5], v[2:3], v[8:9], -v[4:5]
	v_mul_f64 v[2:3], v[6:7], s[0:1]
	v_mul_f64 v[4:5], v[4:5], s[0:1]
	v_add_co_u32 v6, vcc_lo, v15, s3
	v_add_co_ci_u32_e32 v7, vcc_lo, s2, v16, vcc_lo
	v_add_co_u32 v15, vcc_lo, v6, s3
	v_add_co_ci_u32_e32 v16, vcc_lo, s2, v7, vcc_lo
	global_store_dwordx4 v[6:7], v[2:5], off
	global_load_dwordx4 v[2:5], v[17:18], off offset:1312
	v_add_co_u32 v17, vcc_lo, 0x1000, v0
	v_add_co_ci_u32_e32 v18, vcc_lo, 0, v1, vcc_lo
	s_waitcnt vmcnt(0) lgkmcnt(0)
	v_mul_f64 v[8:9], v[12:13], v[4:5]
	v_mul_f64 v[4:5], v[10:11], v[4:5]
	v_fma_f64 v[8:9], v[10:11], v[2:3], v[8:9]
	v_fma_f64 v[4:5], v[2:3], v[12:13], -v[4:5]
	v_mul_f64 v[2:3], v[8:9], s[0:1]
	v_mul_f64 v[4:5], v[4:5], s[0:1]
	global_store_dwordx4 v[15:16], v[2:5], off
	global_load_dwordx4 v[2:5], v[17:18], off offset:384
	ds_read_b128 v[6:9], v14 offset:4480
	ds_read_b128 v[10:13], v14 offset:5600
	s_waitcnt vmcnt(0) lgkmcnt(1)
	v_mul_f64 v[19:20], v[8:9], v[4:5]
	v_mul_f64 v[4:5], v[6:7], v[4:5]
	v_fma_f64 v[6:7], v[6:7], v[2:3], v[19:20]
	v_fma_f64 v[4:5], v[2:3], v[8:9], -v[4:5]
	v_mul_f64 v[2:3], v[6:7], s[0:1]
	v_mul_f64 v[4:5], v[4:5], s[0:1]
	v_add_co_u32 v6, vcc_lo, v15, s3
	v_add_co_ci_u32_e32 v7, vcc_lo, s2, v16, vcc_lo
	v_add_co_u32 v15, vcc_lo, v6, s3
	v_add_co_ci_u32_e32 v16, vcc_lo, s2, v7, vcc_lo
	global_store_dwordx4 v[6:7], v[2:5], off
	global_load_dwordx4 v[2:5], v[17:18], off offset:1504
	v_add_co_u32 v17, vcc_lo, 0x1800, v0
	v_add_co_ci_u32_e32 v18, vcc_lo, 0, v1, vcc_lo
	s_waitcnt vmcnt(0) lgkmcnt(0)
	v_mul_f64 v[8:9], v[12:13], v[4:5]
	v_mul_f64 v[4:5], v[10:11], v[4:5]
	v_fma_f64 v[8:9], v[10:11], v[2:3], v[8:9]
	v_fma_f64 v[4:5], v[2:3], v[12:13], -v[4:5]
	v_mul_f64 v[2:3], v[8:9], s[0:1]
	v_mul_f64 v[4:5], v[4:5], s[0:1]
	;; [unrolled: 26-line block ×4, first 2 shown]
	global_store_dwordx4 v[15:16], v[2:5], off
	global_load_dwordx4 v[2:5], v[6:7], off offset:960
	ds_read_b128 v[6:9], v14 offset:11200
	ds_read_b128 v[10:13], v14 offset:12320
	s_waitcnt vmcnt(0) lgkmcnt(1)
	v_mul_f64 v[17:18], v[8:9], v[4:5]
	v_mul_f64 v[4:5], v[6:7], v[4:5]
	v_fma_f64 v[6:7], v[6:7], v[2:3], v[17:18]
	v_fma_f64 v[4:5], v[2:3], v[8:9], -v[4:5]
	v_mul_f64 v[2:3], v[6:7], s[0:1]
	v_mul_f64 v[4:5], v[4:5], s[0:1]
	v_add_co_u32 v6, vcc_lo, v15, s3
	v_add_co_ci_u32_e32 v7, vcc_lo, s2, v16, vcc_lo
	v_add_co_u32 v8, vcc_lo, 0x3000, v0
	v_add_co_ci_u32_e32 v9, vcc_lo, 0, v1, vcc_lo
	global_store_dwordx4 v[6:7], v[2:5], off
	global_load_dwordx4 v[2:5], v[8:9], off offset:32
	s_waitcnt vmcnt(0) lgkmcnt(0)
	v_mul_f64 v[15:16], v[12:13], v[4:5]
	v_mul_f64 v[4:5], v[10:11], v[4:5]
	v_fma_f64 v[10:11], v[10:11], v[2:3], v[15:16]
	v_fma_f64 v[4:5], v[2:3], v[12:13], -v[4:5]
	v_add_co_u32 v15, vcc_lo, v6, s3
	v_add_co_ci_u32_e32 v16, vcc_lo, s2, v7, vcc_lo
	v_mul_f64 v[2:3], v[10:11], s[0:1]
	v_mul_f64 v[4:5], v[4:5], s[0:1]
	global_store_dwordx4 v[15:16], v[2:5], off
	global_load_dwordx4 v[2:5], v[8:9], off offset:1152
	ds_read_b128 v[6:9], v14 offset:13440
	ds_read_b128 v[10:13], v14 offset:14560
	s_waitcnt vmcnt(0) lgkmcnt(1)
	v_mul_f64 v[17:18], v[8:9], v[4:5]
	v_mul_f64 v[4:5], v[6:7], v[4:5]
	v_fma_f64 v[6:7], v[6:7], v[2:3], v[17:18]
	v_fma_f64 v[4:5], v[2:3], v[8:9], -v[4:5]
	v_mul_f64 v[2:3], v[6:7], s[0:1]
	v_mul_f64 v[4:5], v[4:5], s[0:1]
	v_add_co_u32 v6, vcc_lo, v15, s3
	v_add_co_ci_u32_e32 v7, vcc_lo, s2, v16, vcc_lo
	v_add_co_u32 v8, vcc_lo, 0x3800, v0
	v_add_co_ci_u32_e32 v9, vcc_lo, 0, v1, vcc_lo
	global_store_dwordx4 v[6:7], v[2:5], off
	global_load_dwordx4 v[2:5], v[8:9], off offset:224
	s_waitcnt vmcnt(0) lgkmcnt(0)
	v_mul_f64 v[15:16], v[12:13], v[4:5]
	v_mul_f64 v[4:5], v[10:11], v[4:5]
	v_fma_f64 v[10:11], v[10:11], v[2:3], v[15:16]
	v_fma_f64 v[4:5], v[2:3], v[12:13], -v[4:5]
	v_add_co_u32 v15, vcc_lo, v6, s3
	v_add_co_ci_u32_e32 v16, vcc_lo, s2, v7, vcc_lo
	v_mul_f64 v[2:3], v[10:11], s[0:1]
	v_mul_f64 v[4:5], v[4:5], s[0:1]
	;; [unrolled: 26-line block ×3, first 2 shown]
	ds_read_b128 v[4:7], v14 offset:17920
	global_store_dwordx4 v[10:11], v[0:3], off
	global_load_dwordx4 v[0:3], v[8:9], off offset:1536
	s_waitcnt vmcnt(0) lgkmcnt(0)
	v_mul_f64 v[8:9], v[6:7], v[2:3]
	v_mul_f64 v[2:3], v[4:5], v[2:3]
	v_fma_f64 v[4:5], v[4:5], v[0:1], v[8:9]
	v_fma_f64 v[2:3], v[0:1], v[6:7], -v[2:3]
	v_mul_f64 v[0:1], v[4:5], s[0:1]
	v_mul_f64 v[2:3], v[2:3], s[0:1]
	v_add_co_u32 v4, vcc_lo, v10, s3
	v_add_co_ci_u32_e32 v5, vcc_lo, s2, v11, vcc_lo
	global_store_dwordx4 v[4:5], v[0:3], off
.LBB0_23:
	s_endpgm
	.section	.rodata,"a",@progbits
	.p2align	6, 0x0
	.amdhsa_kernel bluestein_single_back_len1190_dim1_dp_op_CI_CI
		.amdhsa_group_segment_fixed_size 57120
		.amdhsa_private_segment_fixed_size 504
		.amdhsa_kernarg_size 104
		.amdhsa_user_sgpr_count 6
		.amdhsa_user_sgpr_private_segment_buffer 1
		.amdhsa_user_sgpr_dispatch_ptr 0
		.amdhsa_user_sgpr_queue_ptr 0
		.amdhsa_user_sgpr_kernarg_segment_ptr 1
		.amdhsa_user_sgpr_dispatch_id 0
		.amdhsa_user_sgpr_flat_scratch_init 0
		.amdhsa_user_sgpr_private_segment_size 0
		.amdhsa_wavefront_size32 1
		.amdhsa_uses_dynamic_stack 0
		.amdhsa_system_sgpr_private_segment_wavefront_offset 1
		.amdhsa_system_sgpr_workgroup_id_x 1
		.amdhsa_system_sgpr_workgroup_id_y 0
		.amdhsa_system_sgpr_workgroup_id_z 0
		.amdhsa_system_sgpr_workgroup_info 0
		.amdhsa_system_vgpr_workitem_id 0
		.amdhsa_next_free_vgpr 256
		.amdhsa_next_free_sgpr 64
		.amdhsa_reserve_vcc 1
		.amdhsa_reserve_flat_scratch 0
		.amdhsa_float_round_mode_32 0
		.amdhsa_float_round_mode_16_64 0
		.amdhsa_float_denorm_mode_32 3
		.amdhsa_float_denorm_mode_16_64 3
		.amdhsa_dx10_clamp 1
		.amdhsa_ieee_mode 1
		.amdhsa_fp16_overflow 0
		.amdhsa_workgroup_processor_mode 1
		.amdhsa_memory_ordered 1
		.amdhsa_forward_progress 0
		.amdhsa_shared_vgpr_count 0
		.amdhsa_exception_fp_ieee_invalid_op 0
		.amdhsa_exception_fp_denorm_src 0
		.amdhsa_exception_fp_ieee_div_zero 0
		.amdhsa_exception_fp_ieee_overflow 0
		.amdhsa_exception_fp_ieee_underflow 0
		.amdhsa_exception_fp_ieee_inexact 0
		.amdhsa_exception_int_div_zero 0
	.end_amdhsa_kernel
	.text
.Lfunc_end0:
	.size	bluestein_single_back_len1190_dim1_dp_op_CI_CI, .Lfunc_end0-bluestein_single_back_len1190_dim1_dp_op_CI_CI
                                        ; -- End function
	.section	.AMDGPU.csdata,"",@progbits
; Kernel info:
; codeLenInByte = 31864
; NumSgprs: 66
; NumVgprs: 256
; ScratchSize: 504
; MemoryBound: 0
; FloatMode: 240
; IeeeMode: 1
; LDSByteSize: 57120 bytes/workgroup (compile time only)
; SGPRBlocks: 8
; VGPRBlocks: 31
; NumSGPRsForWavesPerEU: 66
; NumVGPRsForWavesPerEU: 256
; Occupancy: 4
; WaveLimiterHint : 1
; COMPUTE_PGM_RSRC2:SCRATCH_EN: 1
; COMPUTE_PGM_RSRC2:USER_SGPR: 6
; COMPUTE_PGM_RSRC2:TRAP_HANDLER: 0
; COMPUTE_PGM_RSRC2:TGID_X_EN: 1
; COMPUTE_PGM_RSRC2:TGID_Y_EN: 0
; COMPUTE_PGM_RSRC2:TGID_Z_EN: 0
; COMPUTE_PGM_RSRC2:TIDIG_COMP_CNT: 0
	.text
	.p2alignl 6, 3214868480
	.fill 48, 4, 3214868480
	.type	__hip_cuid_c99a46ce694b1041,@object ; @__hip_cuid_c99a46ce694b1041
	.section	.bss,"aw",@nobits
	.globl	__hip_cuid_c99a46ce694b1041
__hip_cuid_c99a46ce694b1041:
	.byte	0                               ; 0x0
	.size	__hip_cuid_c99a46ce694b1041, 1

	.ident	"AMD clang version 19.0.0git (https://github.com/RadeonOpenCompute/llvm-project roc-6.4.0 25133 c7fe45cf4b819c5991fe208aaa96edf142730f1d)"
	.section	".note.GNU-stack","",@progbits
	.addrsig
	.addrsig_sym __hip_cuid_c99a46ce694b1041
	.amdgpu_metadata
---
amdhsa.kernels:
  - .args:
      - .actual_access:  read_only
        .address_space:  global
        .offset:         0
        .size:           8
        .value_kind:     global_buffer
      - .actual_access:  read_only
        .address_space:  global
        .offset:         8
        .size:           8
        .value_kind:     global_buffer
      - .actual_access:  read_only
        .address_space:  global
        .offset:         16
        .size:           8
        .value_kind:     global_buffer
      - .actual_access:  read_only
        .address_space:  global
        .offset:         24
        .size:           8
        .value_kind:     global_buffer
      - .actual_access:  read_only
        .address_space:  global
        .offset:         32
        .size:           8
        .value_kind:     global_buffer
      - .offset:         40
        .size:           8
        .value_kind:     by_value
      - .address_space:  global
        .offset:         48
        .size:           8
        .value_kind:     global_buffer
      - .address_space:  global
        .offset:         56
        .size:           8
        .value_kind:     global_buffer
      - .address_space:  global
        .offset:         64
        .size:           8
        .value_kind:     global_buffer
      - .address_space:  global
        .offset:         72
        .size:           8
        .value_kind:     global_buffer
      - .offset:         80
        .size:           4
        .value_kind:     by_value
      - .address_space:  global
        .offset:         88
        .size:           8
        .value_kind:     global_buffer
      - .address_space:  global
        .offset:         96
        .size:           8
        .value_kind:     global_buffer
    .group_segment_fixed_size: 57120
    .kernarg_segment_align: 8
    .kernarg_segment_size: 104
    .language:       OpenCL C
    .language_version:
      - 2
      - 0
    .max_flat_workgroup_size: 255
    .name:           bluestein_single_back_len1190_dim1_dp_op_CI_CI
    .private_segment_fixed_size: 504
    .sgpr_count:     66
    .sgpr_spill_count: 0
    .symbol:         bluestein_single_back_len1190_dim1_dp_op_CI_CI.kd
    .uniform_work_group_size: 1
    .uses_dynamic_stack: false
    .vgpr_count:     256
    .vgpr_spill_count: 125
    .wavefront_size: 32
    .workgroup_processor_mode: 1
amdhsa.target:   amdgcn-amd-amdhsa--gfx1030
amdhsa.version:
  - 1
  - 2
...

	.end_amdgpu_metadata
